;; amdgpu-corpus repo=ROCm/rocFFT kind=compiled arch=gfx1201 opt=O3
	.text
	.amdgcn_target "amdgcn-amd-amdhsa--gfx1201"
	.amdhsa_code_object_version 6
	.protected	bluestein_single_back_len2500_dim1_half_op_CI_CI ; -- Begin function bluestein_single_back_len2500_dim1_half_op_CI_CI
	.globl	bluestein_single_back_len2500_dim1_half_op_CI_CI
	.p2align	8
	.type	bluestein_single_back_len2500_dim1_half_op_CI_CI,@function
bluestein_single_back_len2500_dim1_half_op_CI_CI: ; @bluestein_single_back_len2500_dim1_half_op_CI_CI
; %bb.0:
	s_load_b128 s[12:15], s[0:1], 0x28
	v_mul_u32_u24_e32 v1, 0x107, v0
	s_mov_b32 s2, exec_lo
	v_mov_b32_e32 v25, 0
	s_delay_alu instid0(VALU_DEP_2) | instskip(NEXT) | instid1(VALU_DEP_1)
	v_lshrrev_b32_e32 v1, 16, v1
	v_add_nc_u32_e32 v24, ttmp9, v1
	s_wait_kmcnt 0x0
	s_delay_alu instid0(VALU_DEP_1)
	v_cmpx_gt_u64_e64 s[12:13], v[24:25]
	s_cbranch_execz .LBB0_2
; %bb.1:
	s_clause 0x1
	s_load_b128 s[4:7], s[0:1], 0x18
	s_load_b128 s[8:11], s[0:1], 0x0
	v_mul_lo_u16 v1, 0xfa, v1
	s_load_b64 s[0:1], s[0:1], 0x38
	s_mov_b32 s28, 0xeb1c432d
	s_mov_b32 s29, 0x3f3a36e2
	s_delay_alu instid0(VALU_DEP_1) | instskip(NEXT) | instid1(VALU_DEP_1)
	v_sub_nc_u16 v0, v0, v1
	v_and_b32_e32 v54, 0xffff, v0
	v_and_b32_e32 v14, 0xff, v0
	s_delay_alu instid0(VALU_DEP_2)
	v_add_co_u32 v8, null, 0xfa, v54
	v_lshlrev_b32_e32 v47, 2, v54
	s_wait_kmcnt 0x0
	s_load_b128 s[16:19], s[4:5], 0x0
	s_clause 0x9
	global_load_b32 v32, v47, s[8:9]
	global_load_b32 v29, v47, s[8:9] offset:1000
	global_load_b32 v30, v47, s[8:9] offset:2000
	;; [unrolled: 1-line block ×9, first 2 shown]
	v_add_nc_u32_e32 v53, 0xfa0, v47
	v_add_nc_u32_e32 v52, 0x7c0, v47
	;; [unrolled: 1-line block ×4, first 2 shown]
	s_wait_kmcnt 0x0
	v_mad_co_u64_u32 v[1:2], null, s18, v24, 0
	v_mad_co_u64_u32 v[3:4], null, s16, v54, 0
	s_mul_u64 s[2:3], s[16:17], 0x3e8
	s_delay_alu instid0(VALU_DEP_1) | instskip(NEXT) | instid1(VALU_DEP_1)
	v_mad_co_u64_u32 v[5:6], null, s19, v24, v[2:3]
	v_mad_co_u64_u32 v[6:7], null, s17, v54, v[4:5]
	v_mov_b32_e32 v2, v5
	s_delay_alu instid0(VALU_DEP_1) | instskip(NEXT) | instid1(VALU_DEP_3)
	v_lshlrev_b64_e32 v[1:2], 2, v[1:2]
	v_mov_b32_e32 v4, v6
	s_delay_alu instid0(VALU_DEP_2) | instskip(NEXT) | instid1(VALU_DEP_2)
	v_add_co_u32 v1, vcc_lo, s14, v1
	v_lshlrev_b64_e32 v[3:4], 2, v[3:4]
	s_delay_alu instid0(VALU_DEP_4) | instskip(NEXT) | instid1(VALU_DEP_2)
	v_add_co_ci_u32_e32 v2, vcc_lo, s15, v2, vcc_lo
	v_add_co_u32 v1, vcc_lo, v1, v3
	s_wait_alu 0xfffd
	s_delay_alu instid0(VALU_DEP_2) | instskip(NEXT) | instid1(VALU_DEP_2)
	v_add_co_ci_u32_e32 v2, vcc_lo, v2, v4, vcc_lo
	v_add_co_u32 v3, vcc_lo, v1, s2
	s_wait_alu 0xfffd
	s_delay_alu instid0(VALU_DEP_2)
	v_add_co_ci_u32_e32 v4, vcc_lo, s3, v2, vcc_lo
	s_clause 0x1
	global_load_b32 v5, v[1:2], off
	global_load_b32 v6, v[3:4], off
	v_add_co_u32 v1, vcc_lo, v3, s2
	s_wait_alu 0xfffd
	v_add_co_ci_u32_e32 v2, vcc_lo, s3, v4, vcc_lo
	s_delay_alu instid0(VALU_DEP_2) | instskip(SKIP_1) | instid1(VALU_DEP_2)
	v_add_co_u32 v3, vcc_lo, v1, s2
	s_wait_alu 0xfffd
	v_add_co_ci_u32_e32 v4, vcc_lo, s3, v2, vcc_lo
	s_clause 0x1
	global_load_b32 v7, v[1:2], off
	global_load_b32 v9, v[3:4], off
	v_add_co_u32 v1, vcc_lo, v3, s2
	s_wait_alu 0xfffd
	v_add_co_ci_u32_e32 v2, vcc_lo, s3, v4, vcc_lo
	s_delay_alu instid0(VALU_DEP_2) | instskip(SKIP_1) | instid1(VALU_DEP_2)
	v_add_co_u32 v3, vcc_lo, v1, s2
	s_wait_alu 0xfffd
	v_add_co_ci_u32_e32 v4, vcc_lo, s3, v2, vcc_lo
	global_load_b32 v10, v[1:2], off
	v_add_co_u32 v1, vcc_lo, v3, s2
	s_wait_alu 0xfffd
	v_add_co_ci_u32_e32 v2, vcc_lo, s3, v4, vcc_lo
	global_load_b32 v11, v[3:4], off
	;; [unrolled: 4-line block ×5, first 2 shown]
	global_load_b32 v2, v[3:4], off
	v_and_b32_e32 v3, 0xffff, v8
	v_mul_lo_u16 v4, 0xcd, v14
	s_load_b128 s[4:7], s[6:7], 0x0
	s_add_nc_u64 s[2:3], s[8:9], 0x2710
	s_delay_alu instid0(VALU_DEP_2) | instskip(NEXT) | instid1(VALU_DEP_2)
	v_mul_u32_u24_e32 v3, 0xcccd, v3
	v_lshrrev_b16 v25, 11, v4
	s_delay_alu instid0(VALU_DEP_2) | instskip(NEXT) | instid1(VALU_DEP_2)
	v_lshrrev_b32_e32 v15, 19, v3
	v_mul_lo_u16 v16, v25, 10
	s_delay_alu instid0(VALU_DEP_2) | instskip(NEXT) | instid1(VALU_DEP_1)
	v_mul_lo_u16 v3, v15, 10
	v_sub_nc_u16 v26, v8, v3
	v_lshlrev_b32_e32 v8, 4, v8
	s_wait_kmcnt 0x0
	s_mul_u64 s[30:31], s[4:5], 0x3e8
	s_delay_alu instid0(VALU_DEP_2) | instskip(NEXT) | instid1(VALU_DEP_1)
	v_mad_u16 v15, v15, 50, v26
	v_and_b32_e32 v15, 0xffff, v15
	s_wait_loadcnt 0x13
	v_lshrrev_b32_e32 v45, 16, v32
	s_wait_loadcnt 0x12
	v_lshrrev_b32_e32 v44, 16, v29
	s_wait_loadcnt 0x11
	v_lshrrev_b32_e32 v43, 16, v30
	s_wait_loadcnt 0x10
	v_lshrrev_b32_e32 v42, 16, v31
	s_wait_loadcnt 0xf
	v_lshrrev_b32_e32 v41, 16, v33
	s_wait_loadcnt 0xe
	v_lshrrev_b32_e32 v38, 16, v34
	s_wait_loadcnt 0xd
	v_lshrrev_b32_e32 v39, 16, v35
	s_wait_loadcnt 0xb
	v_lshrrev_b32_e32 v40, 16, v50
	v_lshrrev_b32_e32 v37, 16, v36
	s_wait_loadcnt 0xa
	v_lshrrev_b32_e32 v49, 16, v48
	s_wait_loadcnt 0x9
	v_lshrrev_b32_e32 v3, 16, v5
	v_mul_f16_e32 v4, v45, v5
	s_wait_loadcnt 0x8
	v_lshrrev_b32_e32 v18, 16, v6
	v_mul_f16_e32 v19, v44, v6
	v_mul_f16_e32 v17, v45, v3
	v_fma_f16 v3, v32, v3, -v4
	s_delay_alu instid0(VALU_DEP_4) | instskip(NEXT) | instid1(VALU_DEP_4)
	v_mul_f16_e32 v4, v44, v18
	v_fma_f16 v18, v29, v18, -v19
	s_delay_alu instid0(VALU_DEP_4) | instskip(NEXT) | instid1(VALU_DEP_3)
	v_fmac_f16_e32 v17, v32, v5
	v_fmac_f16_e32 v4, v29, v6
	s_wait_loadcnt 0x7
	v_lshrrev_b32_e32 v5, 16, v7
	v_mul_f16_e32 v19, v43, v7
	v_pack_b32_f16 v3, v17, v3
	s_wait_loadcnt 0x6
	v_lshrrev_b32_e32 v17, 16, v9
	v_pack_b32_f16 v4, v4, v18
	v_mul_f16_e32 v6, v43, v5
	v_fma_f16 v5, v30, v5, -v19
	v_mul_f16_e32 v19, v42, v9
	s_delay_alu instid0(VALU_DEP_3)
	v_fmac_f16_e32 v6, v30, v7
	s_wait_loadcnt 0x5
	v_lshrrev_b32_e32 v18, 16, v10
	v_mul_f16_e32 v7, v42, v17
	v_mul_f16_e32 v20, v41, v10
	v_fma_f16 v17, v31, v17, -v19
	v_pack_b32_f16 v5, v6, v5
	v_mul_f16_e32 v6, v41, v18
	v_fmac_f16_e32 v7, v31, v9
	v_fma_f16 v9, v33, v18, -v20
	s_wait_loadcnt 0x4
	v_lshrrev_b32_e32 v18, 16, v11
	v_mul_f16_e32 v19, v38, v11
	v_fmac_f16_e32 v6, v33, v10
	s_wait_loadcnt 0x3
	v_lshrrev_b32_e32 v10, 16, v12
	v_pack_b32_f16 v7, v7, v17
	v_mul_f16_e32 v17, v38, v18
	v_fma_f16 v18, v34, v18, -v19
	v_mul_f16_e32 v19, v39, v12
	v_pack_b32_f16 v6, v6, v9
	v_mul_f16_e32 v9, v39, v10
	v_fmac_f16_e32 v17, v34, v11
	s_wait_loadcnt 0x2
	v_lshrrev_b32_e32 v11, 16, v13
	v_fma_f16 v10, v35, v10, -v19
	v_mul_f16_e32 v19, v37, v13
	v_fmac_f16_e32 v9, v35, v12
	s_wait_loadcnt 0x1
	v_lshrrev_b32_e32 v12, 16, v1
	s_wait_loadcnt 0x0
	v_lshrrev_b32_e32 v21, 16, v2
	v_mul_f16_e32 v20, v37, v11
	v_fma_f16 v11, v36, v11, -v19
	v_mul_f16_e32 v19, v40, v1
	v_mul_f16_e32 v22, v40, v12
	;; [unrolled: 1-line block ×4, first 2 shown]
	v_fmac_f16_e32 v20, v36, v13
	v_fma_f16 v12, v50, v12, -v19
	v_fmac_f16_e32 v22, v50, v1
	v_fma_f16 v1, v48, v21, -v23
	v_fmac_f16_e32 v27, v48, v2
	v_pack_b32_f16 v2, v17, v18
	v_pack_b32_f16 v9, v9, v10
	;; [unrolled: 1-line block ×5, first 2 shown]
	ds_store_2addr_b32 v47, v3, v4 offset1:250
	ds_store_2addr_b32 v52, v5, v7 offset0:4 offset1:254
	ds_store_2addr_b32 v53, v6, v2 offset1:250
	ds_store_2addr_b32 v51, v9, v10 offset0:4 offset1:254
	ds_store_2addr_b32 v46, v11, v1 offset1:250
	global_wb scope:SCOPE_SE
	s_wait_dscnt 0x0
	s_barrier_signal -1
	s_barrier_wait -1
	global_inv scope:SCOPE_SE
	ds_load_2addr_b32 v[1:2], v53 offset1:250
	ds_load_2addr_b32 v[3:4], v51 offset0:4 offset1:254
	ds_load_2addr_b32 v[5:6], v52 offset0:4 offset1:254
	ds_load_2addr_b32 v[9:10], v46 offset1:250
	ds_load_2addr_b32 v[11:12], v47 offset1:250
	v_mul_lo_u16 v7, v0, 10
	v_sub_nc_u16 v13, v0, v16
	v_lshlrev_b16 v16, 2, v26
	global_wb scope:SCOPE_SE
	s_wait_dscnt 0x0
	s_barrier_signal -1
	v_and_b32_e32 v7, 0xffff, v7
	v_and_b32_e32 v13, 0xff, v13
	;; [unrolled: 1-line block ×3, first 2 shown]
	s_barrier_wait -1
	global_inv scope:SCOPE_SE
	v_lshlrev_b32_e32 v27, 2, v7
	v_lshlrev_b32_e32 v7, 4, v13
	v_lshlrev_b32_e32 v16, 2, v16
	v_lshrrev_b32_e32 v20, 16, v1
	v_add_f16_e32 v17, v1, v3
	v_lshrrev_b32_e32 v18, 16, v5
	v_lshrrev_b32_e32 v19, 16, v9
	;; [unrolled: 1-line block ×3, first 2 shown]
	v_sub_f16_e32 v22, v9, v3
	v_sub_f16_e32 v23, v5, v1
	v_add_f16_e32 v28, v5, v9
	v_sub_f16_e32 v55, v3, v9
	v_sub_f16_e32 v56, v1, v5
	v_pk_add_f16 v57, v11, v5
	v_add_f16_e32 v60, v2, v4
	v_lshrrev_b32_e32 v61, 16, v6
	v_lshrrev_b32_e32 v62, 16, v10
	;; [unrolled: 1-line block ×4, first 2 shown]
	v_add_f16_e32 v67, v6, v10
	v_pk_add_f16 v70, v12, v6
	v_lshrrev_b32_e32 v58, 16, v11
	v_sub_f16_e32 v59, v1, v3
	v_sub_f16_e32 v65, v10, v4
	;; [unrolled: 1-line block ×5, first 2 shown]
	v_lshrrev_b32_e32 v71, 16, v12
	v_sub_f16_e32 v72, v2, v4
	v_fma_f16 v17, -0.5, v17, v11
	v_sub_f16_e32 v73, v18, v19
	v_sub_f16_e32 v74, v20, v21
	v_add_f16_e32 v22, v23, v22
	v_fma_f16 v11, -0.5, v28, v11
	v_add_f16_e32 v23, v56, v55
	v_pk_add_f16 v1, v57, v1
	v_add_f16_e32 v28, v20, v21
	v_sub_f16_e32 v55, v18, v20
	v_sub_f16_e32 v56, v19, v21
	v_add_f16_e32 v57, v18, v19
	v_sub_f16_e32 v18, v20, v18
	v_sub_f16_e32 v19, v21, v19
	v_fma_f16 v20, -0.5, v60, v12
	v_sub_f16_e32 v21, v61, v62
	v_sub_f16_e32 v60, v63, v64
	v_fma_f16 v12, -0.5, v67, v12
	v_pk_add_f16 v2, v70, v2
	v_add_f16_e32 v67, v63, v64
	v_add_f16_e32 v70, v61, v62
	v_sub_f16_e32 v6, v6, v10
	v_add_f16_e32 v65, v66, v65
	v_add_f16_e32 v66, v69, v68
	v_sub_f16_e32 v68, v61, v63
	v_sub_f16_e32 v69, v62, v64
	;; [unrolled: 1-line block ×4, first 2 shown]
	v_pk_add_f16 v1, v1, v3
	v_fma_f16 v3, -0.5, v28, v58
	v_add_f16_e32 v28, v55, v56
	v_fmac_f16_e32 v58, -0.5, v57
	v_add_f16_e32 v18, v18, v19
	v_fmamk_f16 v19, v21, 0x3b9c, v20
	v_fmamk_f16 v55, v60, 0xbb9c, v12
	v_fmac_f16_e32 v12, 0x3b9c, v60
	v_pk_add_f16 v2, v2, v4
	v_fma_f16 v56, -0.5, v67, v71
	v_fmac_f16_e32 v71, -0.5, v70
	v_sub_f16_e32 v5, v5, v9
	v_fmac_f16_e32 v20, 0xbb9c, v21
	v_add_f16_e32 v61, v61, v62
	v_fmamk_f16 v62, v59, 0x3b9c, v58
	v_fmac_f16_e32 v58, 0xbb9c, v59
	v_fmac_f16_e32 v19, 0x38b4, v60
	;; [unrolled: 1-line block ×4, first 2 shown]
	v_pk_add_f16 v2, v2, v10
	v_fmamk_f16 v10, v6, 0xbb9c, v56
	v_fmamk_f16 v21, v72, 0x3b9c, v71
	v_fmac_f16_e32 v71, 0xbb9c, v72
	v_fmac_f16_e32 v56, 0x3b9c, v6
	v_fmamk_f16 v63, v73, 0x3b9c, v17
	v_fmac_f16_e32 v17, 0xbb9c, v73
	v_add_f16_e32 v57, v68, v69
	v_pk_add_f16 v4, v1, v9
	v_fmac_f16_e32 v62, 0xb8b4, v5
	v_fmac_f16_e32 v58, 0x38b4, v5
	;; [unrolled: 1-line block ×9, first 2 shown]
	v_fmamk_f16 v64, v74, 0xbb9c, v11
	v_fmac_f16_e32 v11, 0x3b9c, v74
	v_fmac_f16_e32 v63, 0x38b4, v74
	v_fmac_f16_e32 v17, 0xb8b4, v74
	v_fmamk_f16 v9, v5, 0xbb9c, v3
	v_fmac_f16_e32 v12, 0x34f2, v66
	v_pk_add_f16 v1, v4, v2
	v_pk_add_f16 v4, v4, v2 neg_lo:[0,1] neg_hi:[0,1]
	v_fmac_f16_e32 v62, 0x34f2, v18
	v_fmac_f16_e32 v58, 0x34f2, v18
	;; [unrolled: 1-line block ×5, first 2 shown]
	v_mul_f16_e32 v2, 0x3a79, v19
	v_mul_f16_e32 v18, 0xb8b4, v19
	v_fmac_f16_e32 v3, 0x3b9c, v5
	v_fmac_f16_e32 v20, 0x34f2, v65
	;; [unrolled: 1-line block ×3, first 2 shown]
	v_mul_f16_e32 v19, 0xbb9c, v55
	v_fmac_f16_e32 v64, 0x38b4, v73
	v_fmac_f16_e32 v11, 0xb8b4, v73
	;; [unrolled: 1-line block ×5, first 2 shown]
	v_mul_f16_e32 v5, 0xb4f2, v12
	v_fmac_f16_e32 v2, 0x38b4, v10
	v_mul_f16_e32 v22, 0x3b9c, v21
	v_fmac_f16_e32 v18, 0x3a79, v10
	;; [unrolled: 2-line block ×5, first 2 shown]
	v_fmac_f16_e32 v11, 0x34f2, v23
	v_fmac_f16_e32 v9, 0x34f2, v28
	;; [unrolled: 1-line block ×8, first 2 shown]
	v_add_f16_e32 v23, v63, v2
	v_add_f16_e32 v28, v11, v5
	;; [unrolled: 1-line block ×4, first 2 shown]
	v_sub_f16_e32 v11, v11, v5
	v_sub_f16_e32 v5, v9, v18
	v_add_f16_e32 v9, v64, v22
	v_add_f16_e32 v18, v58, v10
	;; [unrolled: 1-line block ×3, first 2 shown]
	v_sub_f16_e32 v12, v63, v2
	v_sub_f16_e32 v17, v17, v6
	;; [unrolled: 1-line block ×3, first 2 shown]
	v_add_f16_e32 v19, v3, v21
	v_sub_f16_e32 v20, v64, v22
	v_sub_f16_e32 v22, v58, v10
	;; [unrolled: 1-line block ×3, first 2 shown]
	v_pack_b32_f16 v2, v23, v56
	v_pack_b32_f16 v10, v28, v18
	v_pack_b32_f16 v9, v9, v57
	v_pack_b32_f16 v5, v12, v5
	v_pack_b32_f16 v6, v20, v6
	v_pack_b32_f16 v3, v55, v19
	v_pack_b32_f16 v12, v17, v21
	v_pack_b32_f16 v11, v11, v22
	ds_store_2addr_b64 v27, v[1:2], v[9:10] offset1:1
	ds_store_2addr_b64 v27, v[3:4], v[5:6] offset0:2 offset1:3
	ds_store_b64 v27, v[11:12] offset:32
	global_wb scope:SCOPE_SE
	s_wait_dscnt 0x0
	s_barrier_signal -1
	s_barrier_wait -1
	global_inv scope:SCOPE_SE
	s_clause 0x1
	global_load_b128 v[20:23], v7, s[10:11]
	global_load_b128 v[16:19], v16, s[10:11]
	v_mul_lo_u16 v1, v14, 41
	v_and_b32_e32 v11, 0xffff, v25
	v_lshlrev_b32_e32 v25, 2, v15
	s_delay_alu instid0(VALU_DEP_3) | instskip(NEXT) | instid1(VALU_DEP_3)
	v_lshrrev_b16 v14, 11, v1
	v_mul_u32_u24_e32 v11, 50, v11
	s_delay_alu instid0(VALU_DEP_2) | instskip(NEXT) | instid1(VALU_DEP_2)
	v_mul_lo_u16 v1, v14, 50
	v_add_lshl_u32 v26, v11, v13, 2
	s_delay_alu instid0(VALU_DEP_2)
	v_sub_nc_u16 v12, v0, v1
	ds_load_2addr_b32 v[0:1], v47 offset1:250
	ds_load_2addr_b32 v[2:3], v52 offset0:4 offset1:254
	ds_load_2addr_b32 v[4:5], v53 offset1:250
	ds_load_2addr_b32 v[6:7], v51 offset0:4 offset1:254
	ds_load_2addr_b32 v[9:10], v46 offset1:250
	global_wb scope:SCOPE_SE
	s_wait_loadcnt_dscnt 0x0
	s_barrier_signal -1
	s_barrier_wait -1
	v_and_b32_e32 v56, 0xff, v12
	global_inv scope:SCOPE_SE
	v_mad_co_u64_u32 v[11:12], null, v56, 36, s[10:11]
	v_lshrrev_b32_e32 v13, 16, v0
	v_lshrrev_b32_e32 v15, 16, v2
	;; [unrolled: 1-line block ×18, first 2 shown]
	v_mul_f16_e32 v64, v15, v73
	v_mul_f16_e32 v65, v2, v73
	;; [unrolled: 1-line block ×16, first 2 shown]
	v_fma_f16 v2, v2, v20, -v64
	v_fmac_f16_e32 v65, v15, v20
	v_fma_f16 v4, v4, v21, -v66
	v_fmac_f16_e32 v74, v55, v21
	;; [unrolled: 2-line block ×8, first 2 shown]
	v_add_f16_e32 v15, v0, v2
	v_add_f16_e32 v55, v4, v6
	v_sub_f16_e32 v60, v2, v4
	v_sub_f16_e32 v61, v9, v6
	v_sub_f16_e32 v63, v4, v2
	v_sub_f16_e32 v64, v6, v9
	v_add_f16_e32 v66, v13, v65
	v_add_f16_e32 v75, v74, v76
	;; [unrolled: 1-line block ×4, first 2 shown]
	v_sub_f16_e32 v79, v65, v74
	v_sub_f16_e32 v81, v78, v76
	v_add_f16_e32 v87, v1, v3
	v_add_f16_e32 v88, v5, v7
	;; [unrolled: 1-line block ×6, first 2 shown]
	v_sub_f16_e32 v57, v65, v78
	v_sub_f16_e32 v2, v2, v9
	;; [unrolled: 1-line block ×3, first 2 shown]
	v_add_f16_e32 v4, v15, v4
	v_add_f16_e32 v15, v60, v61
	;; [unrolled: 1-line block ×4, first 2 shown]
	v_fma_f16 v64, -0.5, v75, v13
	v_fma_f16 v55, -0.5, v55, v0
	v_sub_f16_e32 v58, v74, v76
	v_fmac_f16_e32 v13, -0.5, v83
	v_fma_f16 v0, -0.5, v62, v0
	v_sub_f16_e32 v65, v74, v65
	v_sub_f16_e32 v89, v80, v86
	;; [unrolled: 1-line block ×6, first 2 shown]
	v_add_f16_e32 v63, v79, v81
	v_add_f16_e32 v5, v87, v5
	v_fma_f16 v74, -0.5, v88, v1
	v_add_f16_e32 v79, v96, v82
	v_fma_f16 v62, -0.5, v97, v59
	v_sub_f16_e32 v85, v76, v78
	v_sub_f16_e32 v90, v82, v84
	v_fmac_f16_e32 v1, -0.5, v93
	v_fmac_f16_e32 v59, -0.5, v101
	v_add_f16_e32 v4, v4, v6
	v_fmamk_f16 v6, v57, 0x3b9c, v55
	v_add_f16_e32 v61, v61, v76
	v_fmamk_f16 v76, v2, 0xbb9c, v64
	v_sub_f16_e32 v99, v80, v82
	v_sub_f16_e32 v80, v82, v80
	v_fmamk_f16 v82, v58, 0xbb9c, v0
	v_fmac_f16_e32 v0, 0x3b9c, v58
	v_fmamk_f16 v83, v77, 0x3b9c, v13
	v_fmac_f16_e32 v13, 0xbb9c, v77
	v_fmac_f16_e32 v55, 0xbb9c, v57
	;; [unrolled: 1-line block ×3, first 2 shown]
	v_sub_f16_e32 v92, v10, v7
	v_sub_f16_e32 v95, v7, v10
	;; [unrolled: 1-line block ×4, first 2 shown]
	v_add_f16_e32 v5, v5, v7
	v_fmamk_f16 v7, v89, 0x3b9c, v74
	v_add_f16_e32 v79, v79, v84
	v_fmamk_f16 v84, v3, 0xbb9c, v62
	;; [unrolled: 2-line block ×3, first 2 shown]
	v_fmac_f16_e32 v1, 0x3b9c, v90
	v_fmamk_f16 v87, v98, 0x3b9c, v59
	v_fmac_f16_e32 v59, 0xbb9c, v98
	v_fmac_f16_e32 v74, 0xbb9c, v89
	;; [unrolled: 1-line block ×11, first 2 shown]
	v_add_f16_e32 v66, v91, v92
	v_add_f16_e32 v81, v99, v100
	v_fmac_f16_e32 v7, 0x38b4, v90
	v_fmac_f16_e32 v84, 0xb8b4, v98
	v_add_f16_e32 v75, v94, v95
	v_add_f16_e32 v80, v80, v102
	v_fmac_f16_e32 v85, 0x38b4, v89
	v_fmac_f16_e32 v1, 0xb8b4, v89
	v_fmac_f16_e32 v87, 0xb8b4, v3
	v_fmac_f16_e32 v59, 0x38b4, v3
	v_add_f16_e32 v4, v4, v9
	v_add_f16_e32 v9, v61, v78
	v_fmac_f16_e32 v74, 0xb8b4, v90
	v_fmac_f16_e32 v62, 0x38b4, v98
	;; [unrolled: 6-line block ×3, first 2 shown]
	v_fmac_f16_e32 v83, 0x34f2, v65
	v_fmac_f16_e32 v13, 0x34f2, v65
	;; [unrolled: 1-line block ×12, first 2 shown]
	v_pack_b32_f16 v3, v4, v9
	v_pack_b32_f16 v4, v6, v76
	v_pack_b32_f16 v2, v2, v5
	v_pack_b32_f16 v5, v82, v83
	v_pack_b32_f16 v0, v0, v13
	v_pack_b32_f16 v6, v55, v64
	v_pack_b32_f16 v7, v7, v84
	v_pack_b32_f16 v9, v85, v87
	v_pack_b32_f16 v1, v1, v59
	v_pack_b32_f16 v10, v74, v62
	ds_store_2addr_b32 v26, v3, v4 offset1:10
	ds_store_2addr_b32 v26, v5, v0 offset0:20 offset1:30
	ds_store_b32 v26, v6 offset:160
	ds_store_2addr_b32 v25, v2, v7 offset1:10
	ds_store_2addr_b32 v25, v9, v1 offset0:20 offset1:30
	ds_store_b32 v25, v10 offset:160
	global_wb scope:SCOPE_SE
	s_wait_dscnt 0x0
	s_barrier_signal -1
	s_barrier_wait -1
	global_inv scope:SCOPE_SE
	s_clause 0x2
	global_load_b128 v[0:3], v[11:12], off offset:160
	global_load_b128 v[4:7], v[11:12], off offset:176
	global_load_b32 v55, v[11:12], off offset:192
	v_and_b32_e32 v15, 0xffff, v14
	ds_load_2addr_b32 v[9:10], v47 offset1:250
	ds_load_2addr_b32 v[11:12], v52 offset0:4 offset1:254
	ds_load_2addr_b32 v[13:14], v53 offset1:250
	ds_load_2addr_b32 v[74:75], v51 offset0:4 offset1:254
	ds_load_2addr_b32 v[76:77], v46 offset1:250
	global_wb scope:SCOPE_SE
	s_wait_loadcnt_dscnt 0x0
	s_barrier_signal -1
	v_mul_u32_u24_e32 v15, 0x1f4, v15
	s_barrier_wait -1
	global_inv scope:SCOPE_SE
	v_add_lshl_u32 v56, v15, v56, 2
	v_lshlrev_b32_e32 v15, 4, v54
	s_delay_alu instid0(VALU_DEP_2)
	v_add_nc_u32_e32 v57, 0x400, v56
	v_lshrrev_b32_e32 v87, 16, v10
	v_lshrrev_b32_e32 v79, 16, v11
	;; [unrolled: 1-line block ×19, first 2 shown]
	v_mul_f16_e32 v88, v79, v65
	v_mul_f16_e32 v89, v11, v65
	;; [unrolled: 1-line block ×18, first 2 shown]
	v_fma_f16 v11, v11, v1, -v88
	v_fma_f16 v12, v12, v2, -v90
	;; [unrolled: 1-line block ×4, first 2 shown]
	v_fmac_f16_e32 v89, v79, v1
	v_fmac_f16_e32 v91, v80, v2
	v_fmac_f16_e32 v93, v81, v3
	v_fmac_f16_e32 v95, v82, v4
	v_fmac_f16_e32 v97, v83, v5
	v_fma_f16 v74, v74, v5, -v96
	v_fma_f16 v75, v75, v6, -v98
	v_fmac_f16_e32 v99, v84, v6
	v_fma_f16 v76, v76, v7, -v100
	v_fmac_f16_e32 v101, v85, v7
	;; [unrolled: 2-line block ×4, first 2 shown]
	v_add_f16_e32 v79, v9, v11
	v_sub_f16_e32 v80, v11, v13
	v_sub_f16_e32 v81, v76, v74
	;; [unrolled: 1-line block ×4, first 2 shown]
	v_add_f16_e32 v88, v93, v97
	v_add_f16_e32 v90, v89, v101
	;; [unrolled: 1-line block ×3, first 2 shown]
	v_sub_f16_e32 v94, v93, v89
	v_sub_f16_e32 v96, v97, v101
	;; [unrolled: 1-line block ×4, first 2 shown]
	v_add_f16_e32 v102, v14, v75
	v_add_f16_e32 v105, v12, v77
	;; [unrolled: 1-line block ×3, first 2 shown]
	v_sub_f16_e32 v107, v14, v12
	v_sub_f16_e32 v108, v75, v77
	v_add_f16_e32 v111, v95, v99
	v_add_f16_e32 v113, v104, v91
	;; [unrolled: 1-line block ×5, first 2 shown]
	v_sub_f16_e32 v86, v89, v93
	v_sub_f16_e32 v87, v101, v97
	;; [unrolled: 1-line block ×3, first 2 shown]
	v_add_f16_e32 v80, v80, v81
	v_sub_f16_e32 v81, v95, v91
	v_add_f16_e32 v84, v84, v85
	v_sub_f16_e32 v85, v13, v74
	v_fma_f16 v88, -0.5, v88, v78
	v_fmac_f16_e32 v78, -0.5, v90
	v_sub_f16_e32 v90, v14, v75
	v_add_f16_e32 v94, v94, v96
	v_sub_f16_e32 v96, v95, v99
	v_sub_f16_e32 v12, v12, v77
	;; [unrolled: 1-line block ×3, first 2 shown]
	v_add_f16_e32 v98, v98, v100
	v_fma_f16 v100, -0.5, v102, v10
	v_fmac_f16_e32 v10, -0.5, v105
	v_add_f16_e32 v102, v107, v108
	v_fma_f16 v107, -0.5, v111, v104
	v_add_f16_e32 v13, v79, v13
	v_add_f16_e32 v79, v92, v93
	;; [unrolled: 1-line block ×4, first 2 shown]
	v_fmac_f16_e32 v104, -0.5, v112
	v_sub_f16_e32 v110, v103, v99
	v_fma_f16 v82, -0.5, v82, v9
	v_fmac_f16_e32 v9, -0.5, v83
	v_sub_f16_e32 v83, v99, v103
	v_add_f16_e32 v86, v86, v87
	v_sub_f16_e32 v87, v93, v97
	v_sub_f16_e32 v11, v11, v76
	v_add_f16_e32 v13, v13, v74
	v_add_f16_e32 v74, v79, v97
	;; [unrolled: 1-line block ×4, first 2 shown]
	v_fmamk_f16 v93, v85, 0x3b9c, v78
	v_fmac_f16_e32 v78, 0xbb9c, v85
	v_fmamk_f16 v95, v91, 0x3b9c, v100
	v_fmamk_f16 v97, v96, 0xbb9c, v10
	v_fmac_f16_e32 v10, 0x3b9c, v96
	v_fmamk_f16 v99, v12, 0xbb9c, v107
	v_sub_f16_e32 v89, v89, v101
	v_fmamk_f16 v106, v90, 0x3b9c, v104
	v_fmac_f16_e32 v104, 0xbb9c, v90
	v_fmac_f16_e32 v100, 0xbb9c, v91
	;; [unrolled: 1-line block ×3, first 2 shown]
	v_add_f16_e32 v105, v109, v110
	v_fmamk_f16 v92, v11, 0xbb9c, v88
	v_fmac_f16_e32 v88, 0x3b9c, v11
	v_add_f16_e32 v13, v13, v76
	v_add_f16_e32 v74, v74, v101
	v_fmac_f16_e32 v93, 0xb8b4, v11
	v_fmac_f16_e32 v78, 0x38b4, v11
	v_add_f16_e32 v11, v14, v77
	v_fmac_f16_e32 v95, 0x38b4, v96
	v_fmac_f16_e32 v10, 0xb8b4, v91
	v_add_f16_e32 v14, v75, v103
	v_fmac_f16_e32 v99, 0xb8b4, v90
	v_add_f16_e32 v81, v81, v83
	v_fmamk_f16 v79, v89, 0x3b9c, v82
	v_fmac_f16_e32 v82, 0xbb9c, v89
	v_fmac_f16_e32 v97, 0x38b4, v91
	;; [unrolled: 1-line block ×6, first 2 shown]
	v_fmamk_f16 v83, v87, 0xbb9c, v9
	v_fmac_f16_e32 v9, 0x3b9c, v87
	v_fmac_f16_e32 v95, 0x34f2, v98
	;; [unrolled: 1-line block ×4, first 2 shown]
	v_add_f16_e32 v12, v13, v11
	v_add_f16_e32 v75, v74, v14
	v_fmac_f16_e32 v79, 0x38b4, v87
	v_fmac_f16_e32 v82, 0xb8b4, v87
	;; [unrolled: 1-line block ×7, first 2 shown]
	v_sub_f16_e32 v11, v13, v11
	v_sub_f16_e32 v13, v74, v14
	v_fmac_f16_e32 v9, 0xb8b4, v89
	v_fmac_f16_e32 v92, 0xb8b4, v85
	v_mul_f16_e32 v14, 0x38b4, v99
	v_pack_b32_f16 v12, v12, v75
	v_mul_f16_e32 v75, 0xb4f2, v10
	v_mul_f16_e32 v76, 0xb8b4, v95
	v_fmac_f16_e32 v83, 0x38b4, v89
	v_fmac_f16_e32 v79, 0x34f2, v80
	v_fmac_f16_e32 v82, 0x34f2, v80
	v_mul_f16_e32 v74, 0x3b9c, v106
	v_mul_f16_e32 v77, 0xbb9c, v97
	;; [unrolled: 1-line block ×3, first 2 shown]
	v_fmac_f16_e32 v88, 0x38b4, v85
	v_pack_b32_f16 v11, v11, v13
	v_mul_f16_e32 v13, 0xba79, v100
	v_mul_f16_e32 v81, 0xba79, v107
	v_fmac_f16_e32 v9, 0x34f2, v84
	v_fmac_f16_e32 v92, 0x34f2, v86
	;; [unrolled: 1-line block ×14, first 2 shown]
	v_add_f16_e32 v10, v79, v14
	v_add_f16_e32 v85, v9, v75
	v_sub_f16_e32 v9, v9, v75
	v_add_f16_e32 v75, v92, v76
	v_add_f16_e32 v84, v83, v74
	;; [unrolled: 1-line block ×3, first 2 shown]
	v_sub_f16_e32 v14, v79, v14
	v_add_f16_e32 v79, v78, v80
	v_add_f16_e32 v86, v82, v13
	v_sub_f16_e32 v74, v83, v74
	v_add_f16_e32 v83, v88, v81
	v_sub_f16_e32 v76, v92, v76
	v_sub_f16_e32 v77, v93, v77
	;; [unrolled: 1-line block ×5, first 2 shown]
	v_pack_b32_f16 v10, v10, v75
	v_pack_b32_f16 v75, v84, v87
	;; [unrolled: 1-line block ×8, first 2 shown]
	ds_store_2addr_b32 v56, v12, v10 offset1:50
	ds_store_2addr_b32 v56, v75, v79 offset0:100 offset1:150
	ds_store_2addr_b32 v56, v81, v11 offset0:200 offset1:250
	;; [unrolled: 1-line block ×4, first 2 shown]
	global_wb scope:SCOPE_SE
	s_wait_dscnt 0x0
	s_barrier_signal -1
	s_barrier_wait -1
	global_inv scope:SCOPE_SE
	s_clause 0x1
	global_load_b128 v[12:15], v15, s[10:11] offset:1960
	global_load_b128 v[8:11], v8, s[10:11] offset:1960
	ds_load_2addr_b32 v[82:83], v52 offset0:4 offset1:254
	ds_load_2addr_b32 v[84:85], v53 offset1:250
	ds_load_2addr_b32 v[86:87], v51 offset0:4 offset1:254
	ds_load_2addr_b32 v[88:89], v46 offset1:250
	ds_load_2addr_b32 v[90:91], v47 offset1:250
	s_wait_dscnt 0x4
	v_lshrrev_b32_e32 v92, 16, v82
	s_wait_dscnt 0x3
	v_lshrrev_b32_e32 v93, 16, v84
	v_lshrrev_b32_e32 v94, 16, v83
	;; [unrolled: 1-line block ×3, first 2 shown]
	s_wait_dscnt 0x2
	v_lshrrev_b32_e32 v96, 16, v86
	v_lshrrev_b32_e32 v97, 16, v87
	s_wait_dscnt 0x1
	v_lshrrev_b32_e32 v98, 16, v88
	v_lshrrev_b32_e32 v99, 16, v89
	;; [unrolled: 3-line block ×3, first 2 shown]
	s_wait_loadcnt 0x1
	v_lshrrev_b32_e32 v78, 16, v12
	v_lshrrev_b32_e32 v79, 16, v13
	s_wait_loadcnt 0x0
	v_lshrrev_b32_e32 v74, 16, v8
	v_lshrrev_b32_e32 v75, 16, v9
	;; [unrolled: 1-line block ×6, first 2 shown]
	v_mul_f16_e32 v102, v92, v78
	v_mul_f16_e32 v105, v93, v79
	;; [unrolled: 1-line block ×12, first 2 shown]
	v_fma_f16 v82, v82, v12, -v102
	v_mul_f16_e32 v102, v99, v77
	v_fma_f16 v84, v84, v13, -v105
	v_mul_f16_e32 v105, v89, v77
	v_mul_f16_e32 v112, v86, v80
	v_fma_f16 v83, v83, v8, -v103
	v_mul_f16_e32 v103, v88, v81
	v_fma_f16 v85, v85, v9, -v106
	v_fma_f16 v86, v86, v14, -v110
	;; [unrolled: 1-line block ×5, first 2 shown]
	v_fmac_f16_e32 v107, v94, v8
	v_fmac_f16_e32 v109, v95, v9
	;; [unrolled: 1-line block ×8, first 2 shown]
	v_add_f16_e32 v92, v85, v87
	v_add_f16_e32 v93, v83, v89
	v_sub_f16_e32 v95, v85, v83
	v_sub_f16_e32 v96, v87, v89
	v_add_f16_e32 v97, v109, v113
	v_add_f16_e32 v98, v107, v105
	v_sub_f16_e32 v102, v109, v107
	v_sub_f16_e32 v106, v113, v105
	;; [unrolled: 1-line block ×4, first 2 shown]
	v_add_f16_e32 v94, v91, v83
	v_add_f16_e32 v99, v100, v107
	v_sub_f16_e32 v114, v84, v82
	v_fma_f16 v92, -0.5, v92, v91
	v_fmac_f16_e32 v91, -0.5, v93
	v_sub_f16_e32 v93, v86, v88
	v_add_f16_e32 v95, v95, v96
	v_sub_f16_e32 v96, v104, v108
	v_fma_f16 v97, -0.5, v97, v100
	v_fmac_f16_e32 v100, -0.5, v98
	v_sub_f16_e32 v98, v103, v112
	v_add_f16_e32 v102, v102, v106
	v_add_f16_e32 v106, v108, v112
	;; [unrolled: 1-line block ×7, first 2 shown]
	v_sub_f16_e32 v98, v108, v104
	v_fma_f16 v106, -0.5, v106, v101
	v_fmac_f16_e32 v101, -0.5, v111
	v_sub_f16_e32 v111, v112, v103
	v_sub_f16_e32 v115, v89, v87
	;; [unrolled: 1-line block ×3, first 2 shown]
	v_add_f16_e32 v94, v94, v85
	v_add_f16_e32 v117, v84, v86
	;; [unrolled: 1-line block ×3, first 2 shown]
	v_sub_f16_e32 v111, v83, v85
	v_sub_f16_e32 v85, v85, v87
	v_add_f16_e32 v87, v94, v87
	v_add_f16_e32 v94, v99, v109
	v_sub_f16_e32 v99, v109, v113
	v_add_f16_e32 v111, v111, v115
	v_sub_f16_e32 v115, v107, v109
	v_add_f16_e32 v109, v82, v88
	v_add_f16_e32 v114, v114, v108
	v_sub_f16_e32 v108, v108, v112
	v_add_f16_e32 v94, v94, v113
	v_add_f16_e32 v115, v115, v116
	;; [unrolled: 1-line block ×3, first 2 shown]
	v_fma_f16 v113, -0.5, v117, v90
	v_fma_f16 v90, -0.5, v109, v90
	v_sub_f16_e32 v104, v104, v103
	v_sub_f16_e32 v82, v82, v88
	v_add_f16_e32 v116, v116, v84
	v_sub_f16_e32 v84, v84, v86
	v_fmamk_f16 v109, v108, 0xbb9c, v90
	v_fmac_f16_e32 v90, 0x3b9c, v108
	v_sub_f16_e32 v107, v107, v105
	v_add_f16_e32 v86, v116, v86
	v_sub_f16_e32 v83, v83, v89
	v_fmac_f16_e32 v109, 0x38b4, v104
	v_fmac_f16_e32 v90, 0xb8b4, v104
	v_add_f16_e32 v87, v87, v89
	v_add_f16_e32 v86, v86, v88
	v_fmamk_f16 v88, v104, 0x3b9c, v113
	v_fmac_f16_e32 v113, 0xbb9c, v104
	v_fmamk_f16 v104, v82, 0xbb9c, v106
	v_fmac_f16_e32 v106, 0x3b9c, v82
	;; [unrolled: 2-line block ×3, first 2 shown]
	v_fmac_f16_e32 v113, 0xb8b4, v108
	v_fmamk_f16 v108, v84, 0x3b9c, v101
	v_fmac_f16_e32 v101, 0xbb9c, v84
	v_fmac_f16_e32 v104, 0xb8b4, v84
	v_fmac_f16_e32 v106, 0x38b4, v84
	v_fmamk_f16 v84, v107, 0x3b9c, v92
	v_fmac_f16_e32 v92, 0xbb9c, v107
	v_fmac_f16_e32 v108, 0xb8b4, v82
	;; [unrolled: 4-line block ×4, first 2 shown]
	v_add_f16_e32 v112, v114, v112
	v_fmac_f16_e32 v91, 0xb8b4, v107
	v_fmac_f16_e32 v89, 0xb8b4, v85
	;; [unrolled: 1-line block ×4, first 2 shown]
	v_add_f16_e32 v94, v94, v105
	v_fmac_f16_e32 v97, 0x38b4, v85
	v_fmac_f16_e32 v99, 0xb8b4, v83
	;; [unrolled: 1-line block ×8, first 2 shown]
	v_add_f16_e32 v103, v112, v103
	v_fmac_f16_e32 v113, 0x34f2, v110
	v_fmac_f16_e32 v106, 0x34f2, v96
	v_fmac_f16_e32 v91, 0x34f2, v95
	v_fmac_f16_e32 v100, 0x34f2, v102
	v_fmac_f16_e32 v84, 0x34f2, v111
	v_fmac_f16_e32 v89, 0x34f2, v115
	v_fmac_f16_e32 v92, 0x34f2, v111
	v_fmac_f16_e32 v82, 0x34f2, v95
	v_fmac_f16_e32 v97, 0x34f2, v115
	v_fmac_f16_e32 v99, 0x34f2, v102
	v_pack_b32_f16 v85, v87, v94
	v_pack_b32_f16 v87, v88, v104
	;; [unrolled: 1-line block ×10, first 2 shown]
	ds_store_b32 v47, v87 offset:2000
	ds_store_b32 v47, v88 offset:4000
	;; [unrolled: 1-line block ×4, first 2 shown]
	ds_store_2addr_b32 v47, v83, v85 offset1:250
	ds_store_b32 v47, v84 offset:3000
	ds_store_b32 v47, v82 offset:5000
	;; [unrolled: 1-line block ×4, first 2 shown]
	global_wb scope:SCOPE_SE
	s_wait_dscnt 0x0
	s_barrier_signal -1
	s_barrier_wait -1
	global_inv scope:SCOPE_SE
	s_clause 0x9
	global_load_b32 v84, v47, s[8:9] offset:10000
	global_load_b32 v85, v47, s[2:3] offset:1000
	;; [unrolled: 1-line block ×10, first 2 shown]
	ds_load_2addr_b32 v[82:83], v47 offset1:250
	s_wait_dscnt 0x0
	v_lshrrev_b32_e32 v86, 16, v82
	v_lshrrev_b32_e32 v88, 16, v83
	s_wait_loadcnt 0x9
	v_lshrrev_b32_e32 v87, 16, v84
	s_wait_loadcnt 0x8
	;; [unrolled: 2-line block ×3, first 2 shown]
	v_lshrrev_b32_e32 v100, 16, v92
	v_mul_f16_e32 v98, v82, v87
	v_mul_f16_e32 v87, v86, v87
	;; [unrolled: 1-line block ×4, first 2 shown]
	s_wait_loadcnt 0x4
	v_lshrrev_b32_e32 v101, 16, v93
	v_fmac_f16_e32 v98, v86, v84
	v_fma_f16 v82, v82, v84, -v87
	v_fma_f16 v83, v83, v85, -v99
	v_fmac_f16_e32 v89, v88, v85
	v_lshrrev_b32_e32 v99, 16, v91
	s_wait_loadcnt 0x3
	v_lshrrev_b32_e32 v102, 16, v94
	v_pack_b32_f16 v82, v82, v98
	v_lshrrev_b32_e32 v98, 16, v90
	v_pack_b32_f16 v83, v83, v89
	s_wait_loadcnt 0x2
	v_lshrrev_b32_e32 v103, 16, v95
	s_wait_loadcnt 0x1
	v_lshrrev_b32_e32 v104, 16, v96
	;; [unrolled: 2-line block ×3, first 2 shown]
	ds_store_2addr_b32 v47, v82, v83 offset1:250
	ds_load_2addr_b32 v[82:83], v52 offset0:4 offset1:254
	ds_load_2addr_b32 v[84:85], v53 offset1:250
	ds_load_2addr_b32 v[86:87], v51 offset0:4 offset1:254
	ds_load_2addr_b32 v[88:89], v46 offset1:250
	s_wait_dscnt 0x3
	v_lshrrev_b32_e32 v106, 16, v82
	v_mul_f16_e32 v107, v82, v98
	v_lshrrev_b32_e32 v108, 16, v83
	v_mul_f16_e32 v109, v83, v99
	s_wait_dscnt 0x2
	v_lshrrev_b32_e32 v110, 16, v84
	v_mul_f16_e32 v111, v84, v100
	v_lshrrev_b32_e32 v112, 16, v85
	v_mul_f16_e32 v113, v85, v101
	s_wait_dscnt 0x1
	v_lshrrev_b32_e32 v114, 16, v86
	v_mul_f16_e32 v98, v106, v98
	v_fmac_f16_e32 v107, v106, v90
	v_mul_f16_e32 v106, v86, v102
	v_mul_f16_e32 v99, v108, v99
	v_fmac_f16_e32 v109, v108, v91
	v_lshrrev_b32_e32 v108, 16, v87
	v_mul_f16_e32 v100, v110, v100
	v_fmac_f16_e32 v111, v110, v92
	v_mul_f16_e32 v110, v87, v103
	v_mul_f16_e32 v101, v112, v101
	v_fmac_f16_e32 v113, v112, v93
	s_wait_dscnt 0x0
	v_lshrrev_b32_e32 v112, 16, v88
	v_mul_f16_e32 v102, v114, v102
	v_fmac_f16_e32 v106, v114, v94
	v_mul_f16_e32 v114, v88, v104
	v_mul_f16_e32 v103, v108, v103
	v_fmac_f16_e32 v110, v108, v95
	v_lshrrev_b32_e32 v108, 16, v89
	v_mul_f16_e32 v104, v112, v104
	v_fmac_f16_e32 v114, v112, v96
	v_mul_f16_e32 v112, v89, v105
	v_fma_f16 v82, v82, v90, -v98
	v_mul_f16_e32 v105, v108, v105
	v_fma_f16 v83, v83, v91, -v99
	v_fma_f16 v84, v84, v92, -v100
	;; [unrolled: 1-line block ×5, first 2 shown]
	v_fmac_f16_e32 v112, v108, v97
	v_fma_f16 v88, v88, v96, -v104
	v_fma_f16 v89, v89, v97, -v105
	v_pack_b32_f16 v82, v82, v107
	v_pack_b32_f16 v83, v83, v109
	;; [unrolled: 1-line block ×8, first 2 shown]
	ds_store_2addr_b32 v52, v82, v83 offset0:4 offset1:254
	ds_store_2addr_b32 v53, v84, v85 offset1:250
	ds_store_2addr_b32 v51, v86, v87 offset0:4 offset1:254
	ds_store_2addr_b32 v46, v88, v89 offset1:250
	global_wb scope:SCOPE_SE
	s_wait_dscnt 0x0
	s_barrier_signal -1
	s_barrier_wait -1
	global_inv scope:SCOPE_SE
	ds_load_2addr_b32 v[82:83], v47 offset1:250
	ds_load_2addr_b32 v[84:85], v52 offset0:4 offset1:254
	ds_load_2addr_b32 v[86:87], v46 offset1:250
	ds_load_2addr_b32 v[88:89], v51 offset0:4 offset1:254
	ds_load_2addr_b32 v[90:91], v53 offset1:250
	global_wb scope:SCOPE_SE
	s_wait_dscnt 0x0
	s_barrier_signal -1
	s_barrier_wait -1
	global_inv scope:SCOPE_SE
	v_lshrrev_b32_e32 v114, 16, v82
	v_pk_add_f16 v92, v82, v84
	v_pk_add_f16 v93, v83, v85
	v_lshrrev_b32_e32 v94, 16, v86
	v_add_f16_e32 v96, v84, v86
	v_sub_f16_e32 v97, v88, v86
	v_sub_f16_e32 v98, v84, v86
	v_add_f16_e32 v99, v85, v87
	v_sub_f16_e32 v100, v85, v87
	v_lshrrev_b32_e32 v101, 16, v84
	v_sub_f16_e32 v102, v84, v90
	v_sub_f16_e32 v84, v90, v84
	v_lshrrev_b32_e32 v103, 16, v85
	v_sub_f16_e32 v104, v85, v91
	v_sub_f16_e32 v85, v91, v85
	;; [unrolled: 1-line block ×3, first 2 shown]
	v_add_f16_e32 v106, v90, v88
	v_lshrrev_b32_e32 v107, 16, v90
	v_sub_f16_e32 v108, v90, v88
	v_add_f16_e32 v109, v91, v89
	v_lshrrev_b32_e32 v110, 16, v91
	v_lshrrev_b32_e32 v112, 16, v88
	;; [unrolled: 1-line block ×3, first 2 shown]
	v_pk_add_f16 v90, v92, v90
	v_lshrrev_b32_e32 v116, 16, v87
	v_sub_f16_e32 v95, v86, v88
	v_sub_f16_e32 v111, v91, v89
	v_pk_add_f16 v91, v93, v91
	v_lshrrev_b32_e32 v92, 16, v83
	v_fma_f16 v93, -0.5, v106, v82
	v_fma_f16 v96, -0.5, v96, v82
	;; [unrolled: 1-line block ×4, first 2 shown]
	v_add_f16_e32 v82, v84, v97
	v_add_f16_e32 v84, v85, v105
	;; [unrolled: 1-line block ×3, first 2 shown]
	v_sub_f16_e32 v97, v107, v101
	v_sub_f16_e32 v99, v107, v112
	;; [unrolled: 1-line block ×3, first 2 shown]
	v_add_f16_e32 v107, v101, v94
	v_sub_f16_e32 v101, v101, v94
	v_sub_f16_e32 v109, v112, v94
	v_pk_add_f16 v88, v90, v88
	v_add_f16_e32 v90, v110, v113
	v_add_f16_e32 v117, v103, v116
	v_sub_f16_e32 v94, v94, v112
	v_sub_f16_e32 v112, v87, v89
	v_pk_add_f16 v89, v91, v89
	v_sub_f16_e32 v91, v110, v103
	v_sub_f16_e32 v115, v110, v113
	;; [unrolled: 1-line block ×4, first 2 shown]
	v_add_f16_e32 v97, v97, v109
	v_fma_f16 v90, -0.5, v90, v92
	v_fmac_f16_e32 v92, -0.5, v117
	v_fmamk_f16 v109, v101, 0xbb9c, v93
	v_fmac_f16_e32 v93, 0x3b9c, v101
	v_sub_f16_e32 v118, v113, v116
	v_sub_f16_e32 v113, v116, v113
	v_add_f16_e32 v95, v102, v95
	v_add_f16_e32 v102, v104, v112
	v_fma_f16 v104, -0.5, v85, v114
	v_fmac_f16_e32 v114, -0.5, v107
	v_fmamk_f16 v107, v99, 0x3b9c, v96
	v_fmac_f16_e32 v96, 0xbb9c, v99
	v_fmamk_f16 v112, v103, 0xbb9c, v106
	v_pk_add_f16 v85, v88, v86
	v_pk_add_f16 v86, v89, v87
	v_fmac_f16_e32 v109, 0xb8b4, v99
	v_fmac_f16_e32 v93, 0x38b4, v99
	v_fmamk_f16 v89, v111, 0xbb9c, v92
	v_fmac_f16_e32 v92, 0x3b9c, v111
	v_fmamk_f16 v99, v100, 0x3b9c, v90
	v_fmac_f16_e32 v90, 0xbb9c, v100
	v_add_f16_e32 v91, v91, v118
	v_add_f16_e32 v94, v105, v94
	;; [unrolled: 1-line block ×3, first 2 shown]
	v_fmamk_f16 v110, v115, 0x3b9c, v83
	v_fmac_f16_e32 v83, 0xbb9c, v115
	v_fmac_f16_e32 v112, 0xb8b4, v115
	v_fmamk_f16 v88, v98, 0x3b9c, v104
	v_fmac_f16_e32 v104, 0xbb9c, v98
	v_fmac_f16_e32 v92, 0xb8b4, v100
	;; [unrolled: 1-line block ×10, first 2 shown]
	v_fmamk_f16 v87, v108, 0xbb9c, v114
	v_fmac_f16_e32 v114, 0x3b9c, v108
	v_fmac_f16_e32 v112, 0x34f2, v102
	;; [unrolled: 1-line block ×15, first 2 shown]
	v_pk_add_f16 v82, v85, v86
	v_pk_add_f16 v85, v85, v86 neg_lo:[0,1] neg_hi:[0,1]
	v_mul_f16_e32 v84, 0x38b4, v112
	v_fmac_f16_e32 v88, 0x34f2, v94
	v_fmac_f16_e32 v104, 0x34f2, v94
	v_mul_f16_e32 v86, 0xbb9c, v92
	v_mul_f16_e32 v91, 0xb4f2, v92
	;; [unrolled: 1-line block ×5, first 2 shown]
	v_fmac_f16_e32 v109, 0x34f2, v95
	v_fmac_f16_e32 v93, 0x34f2, v95
	;; [unrolled: 1-line block ×3, first 2 shown]
	v_mul_f16_e32 v95, 0xb8b4, v90
	v_mul_f16_e32 v90, 0xba79, v90
	v_fmac_f16_e32 v87, 0x34f2, v97
	v_fmac_f16_e32 v114, 0x34f2, v97
	;; [unrolled: 1-line block ×10, first 2 shown]
	v_sub_f16_e32 v83, v88, v84
	v_add_f16_e32 v84, v88, v84
	v_add_f16_e32 v88, v96, v86
	;; [unrolled: 1-line block ×5, first 2 shown]
	v_sub_f16_e32 v100, v109, v94
	v_add_f16_e32 v94, v109, v94
	v_sub_f16_e32 v92, v107, v92
	v_sub_f16_e32 v89, v87, v89
	v_add_f16_e32 v101, v93, v95
	v_add_f16_e32 v102, v104, v90
	v_sub_f16_e32 v96, v96, v86
	v_sub_f16_e32 v93, v93, v95
	;; [unrolled: 1-line block ×4, first 2 shown]
	v_pack_b32_f16 v87, v88, v97
	v_pack_b32_f16 v86, v98, v99
	v_pack_b32_f16 v88, v100, v83
	v_pack_b32_f16 v83, v94, v84
	v_pack_b32_f16 v89, v92, v89
	v_pack_b32_f16 v84, v101, v102
	v_pack_b32_f16 v91, v93, v90
	v_pack_b32_f16 v90, v96, v95
	ds_store_2addr_b64 v27, v[82:83], v[86:87] offset1:1
	ds_store_2addr_b64 v27, v[84:85], v[88:89] offset0:2 offset1:3
	ds_store_b64 v27, v[90:91] offset:32
	global_wb scope:SCOPE_SE
	s_wait_dscnt 0x0
	s_barrier_signal -1
	s_barrier_wait -1
	global_inv scope:SCOPE_SE
	ds_load_2addr_b32 v[82:83], v52 offset0:4 offset1:254
	ds_load_2addr_b32 v[84:85], v53 offset1:250
	ds_load_2addr_b32 v[86:87], v51 offset0:4 offset1:254
	ds_load_2addr_b32 v[88:89], v46 offset1:250
	ds_load_2addr_b32 v[90:91], v47 offset1:250
	global_wb scope:SCOPE_SE
	s_wait_dscnt 0x0
	s_barrier_signal -1
	s_barrier_wait -1
	global_inv scope:SCOPE_SE
	v_lshrrev_b32_e32 v27, 16, v82
	v_mul_f16_e32 v92, v73, v82
	v_lshrrev_b32_e32 v93, 16, v84
	v_mul_f16_e32 v94, v72, v84
	;; [unrolled: 2-line block ×9, first 2 shown]
	v_fma_f16 v27, v20, v27, -v92
	v_mul_f16_e32 v72, v72, v93
	v_fma_f16 v92, v21, v93, -v94
	v_mul_f16_e32 v71, v71, v95
	v_fma_f16 v93, v22, v95, -v96
	v_mul_f16_e32 v70, v70, v97
	v_fma_f16 v94, v23, v97, -v98
	v_mul_f16_e32 v67, v67, v99
	v_mul_f16_e32 v68, v68, v101
	v_mul_f16_e32 v69, v69, v103
	v_fma_f16 v95, v16, v99, -v100
	v_fma_f16 v96, v17, v101, -v102
	;; [unrolled: 1-line block ×3, first 2 shown]
	v_mul_f16_e32 v28, v28, v105
	v_fma_f16 v98, v19, v105, -v106
	v_lshrrev_b32_e32 v107, 16, v90
	v_fmac_f16_e32 v73, v20, v82
	v_fmac_f16_e32 v72, v21, v84
	v_fmac_f16_e32 v71, v22, v86
	v_fmac_f16_e32 v67, v16, v83
	v_fmac_f16_e32 v68, v17, v85
	v_fmac_f16_e32 v69, v18, v87
	v_fmac_f16_e32 v28, v19, v89
	v_sub_f16_e32 v17, v27, v92
	v_sub_f16_e32 v18, v94, v93
	v_add_f16_e32 v19, v92, v93
	v_sub_f16_e32 v21, v92, v27
	v_sub_f16_e32 v22, v93, v94
	v_add_f16_e32 v83, v96, v97
	v_add_f16_e32 v84, v95, v98
	;; [unrolled: 1-line block ×3, first 2 shown]
	v_fmac_f16_e32 v70, v23, v88
	v_add_f16_e32 v20, v27, v94
	v_sub_f16_e32 v23, v95, v96
	v_sub_f16_e32 v82, v98, v97
	v_add_f16_e32 v16, v107, v27
	v_sub_f16_e32 v86, v96, v95
	v_sub_f16_e32 v87, v97, v98
	;; [unrolled: 1-line block ×3, first 2 shown]
	v_add_f16_e32 v17, v17, v18
	v_fma_f16 v18, -0.5, v19, v107
	v_add_f16_e32 v19, v21, v22
	v_fma_f16 v21, -0.5, v83, v108
	v_fmac_f16_e32 v108, -0.5, v84
	v_add_f16_e32 v85, v85, v96
	v_add_f16_e32 v96, v90, v73
	;; [unrolled: 1-line block ×3, first 2 shown]
	v_sub_f16_e32 v106, v68, v69
	v_fmac_f16_e32 v107, -0.5, v20
	v_add_f16_e32 v20, v23, v82
	v_sub_f16_e32 v23, v73, v72
	v_sub_f16_e32 v83, v72, v73
	;; [unrolled: 1-line block ×3, first 2 shown]
	v_add_f16_e32 v73, v73, v70
	v_sub_f16_e32 v88, v92, v93
	v_sub_f16_e32 v82, v70, v71
	;; [unrolled: 1-line block ×3, first 2 shown]
	v_add_f16_e32 v16, v16, v92
	v_add_f16_e32 v92, v68, v69
	;; [unrolled: 1-line block ×4, first 2 shown]
	v_sub_f16_e32 v27, v27, v94
	v_add_f16_e32 v22, v86, v87
	v_sub_f16_e32 v86, v67, v68
	v_sub_f16_e32 v87, v28, v69
	;; [unrolled: 1-line block ×5, first 2 shown]
	v_add_f16_e32 v85, v85, v97
	v_add_f16_e32 v72, v96, v72
	v_fmamk_f16 v96, v106, 0xbb9c, v108
	v_fmac_f16_e32 v108, 0x3b9c, v106
	v_fma_f16 v97, -0.5, v103, v90
	v_fma_f16 v73, -0.5, v73, v90
	v_sub_f16_e32 v95, v95, v98
	v_add_f16_e32 v23, v23, v82
	v_add_f16_e32 v82, v83, v84
	v_fma_f16 v84, -0.5, v92, v91
	v_add_f16_e32 v68, v100, v68
	v_fmac_f16_e32 v91, -0.5, v99
	v_add_f16_e32 v16, v16, v93
	v_add_f16_e32 v83, v86, v87
	v_fmamk_f16 v87, v105, 0x3b9c, v18
	v_fmamk_f16 v93, v67, 0x3b9c, v21
	v_fmac_f16_e32 v21, 0xbb9c, v67
	v_fmac_f16_e32 v96, 0x38b4, v67
	;; [unrolled: 1-line block ×3, first 2 shown]
	v_fmamk_f16 v67, v27, 0xbb9c, v97
	v_fmamk_f16 v92, v104, 0xbb9c, v107
	v_fmac_f16_e32 v107, 0x3b9c, v104
	v_add_f16_e32 v71, v72, v71
	v_fmamk_f16 v72, v88, 0x3b9c, v73
	v_fmac_f16_e32 v73, 0xbb9c, v88
	v_fmac_f16_e32 v18, 0xbb9c, v105
	;; [unrolled: 1-line block ×3, first 2 shown]
	v_sub_f16_e32 v102, v69, v28
	v_add_f16_e32 v68, v68, v69
	v_add_f16_e32 v69, v85, v98
	v_fmamk_f16 v85, v95, 0xbb9c, v84
	v_fmac_f16_e32 v84, 0x3b9c, v95
	v_fmamk_f16 v90, v89, 0x3b9c, v91
	v_fmac_f16_e32 v91, 0xbb9c, v89
	v_fmac_f16_e32 v87, 0x38b4, v104
	;; [unrolled: 1-line block ×11, first 2 shown]
	v_add_f16_e32 v86, v101, v102
	v_fmac_f16_e32 v21, 0xb8b4, v106
	v_fmac_f16_e32 v84, 0x38b4, v89
	;; [unrolled: 1-line block ×4, first 2 shown]
	v_add_f16_e32 v16, v16, v94
	v_add_f16_e32 v70, v71, v70
	v_fmac_f16_e32 v87, 0x34f2, v17
	v_fmac_f16_e32 v67, 0x34f2, v23
	;; [unrolled: 1-line block ×8, first 2 shown]
	v_add_f16_e32 v17, v68, v28
	v_fmac_f16_e32 v93, 0x34f2, v20
	v_fmac_f16_e32 v85, 0x34f2, v83
	;; [unrolled: 1-line block ×8, first 2 shown]
	v_pack_b32_f16 v16, v70, v16
	v_pack_b32_f16 v19, v67, v87
	;; [unrolled: 1-line block ×10, first 2 shown]
	ds_store_2addr_b32 v26, v16, v19 offset1:10
	ds_store_2addr_b32 v26, v20, v22 offset0:20 offset1:30
	ds_store_b32 v26, v18 offset:160
	ds_store_2addr_b32 v25, v17, v23 offset1:10
	ds_store_2addr_b32 v25, v27, v28 offset0:20 offset1:30
	ds_store_b32 v25, v21 offset:160
	global_wb scope:SCOPE_SE
	s_wait_dscnt 0x0
	s_barrier_signal -1
	s_barrier_wait -1
	global_inv scope:SCOPE_SE
	ds_load_2addr_b32 v[20:21], v47 offset1:250
	ds_load_2addr_b32 v[22:23], v52 offset0:4 offset1:254
	ds_load_2addr_b32 v[25:26], v53 offset1:250
	ds_load_2addr_b32 v[27:28], v51 offset0:4 offset1:254
	ds_load_2addr_b32 v[67:68], v46 offset1:250
	global_wb scope:SCOPE_SE
	s_wait_dscnt 0x0
	s_barrier_signal -1
	s_barrier_wait -1
	global_inv scope:SCOPE_SE
	v_mad_co_u64_u32 v[16:17], null, s6, v24, 0
	v_mad_co_u64_u32 v[18:19], null, s4, v54, 0
	v_lshrrev_b32_e32 v69, 16, v21
	v_lshrrev_b32_e32 v70, 16, v22
	;; [unrolled: 1-line block ×6, first 2 shown]
	v_mul_f16_e32 v83, v66, v21
	v_lshrrev_b32_e32 v84, 16, v28
	v_lshrrev_b32_e32 v85, 16, v67
	v_mul_f16_e32 v86, v65, v22
	v_mul_f16_e32 v87, v64, v23
	;; [unrolled: 1-line block ×7, first 2 shown]
	v_lshrrev_b32_e32 v93, 16, v68
	v_mul_f16_e32 v94, v58, v68
	v_mul_f16_e32 v66, v66, v69
	v_fma_f16 v69, v0, v69, -v83
	v_mul_f16_e32 v65, v65, v70
	v_fma_f16 v70, v1, v70, -v86
	;; [unrolled: 2-line block ×9, first 2 shown]
	v_lshrrev_b32_e32 v95, 16, v20
	v_fmac_f16_e32 v66, v0, v21
	v_fmac_f16_e32 v65, v1, v22
	;; [unrolled: 1-line block ×9, first 2 shown]
	v_add_f16_e32 v3, v72, v82
	v_sub_f16_e32 v4, v70, v72
	v_sub_f16_e32 v5, v84, v82
	v_add_f16_e32 v6, v70, v84
	v_add_f16_e32 v25, v69, v71
	v_add_f16_e32 v26, v73, v83
	v_sub_f16_e32 v67, v73, v71
	v_sub_f16_e32 v68, v83, v85
	v_add_f16_e32 v2, v95, v70
	v_sub_f16_e32 v7, v72, v70
	v_sub_f16_e32 v21, v82, v84
	;; [unrolled: 1-line block ×4, first 2 shown]
	v_add_f16_e32 v55, v71, v85
	v_sub_f16_e32 v0, v70, v84
	v_sub_f16_e32 v22, v71, v85
	;; [unrolled: 1-line block ×3, first 2 shown]
	v_add_f16_e32 v70, v20, v65
	v_add_f16_e32 v71, v63, v61
	;; [unrolled: 1-line block ×3, first 2 shown]
	v_sub_f16_e32 v5, v65, v63
	v_fma_f16 v3, -0.5, v3, v95
	v_fmac_f16_e32 v95, -0.5, v6
	v_sub_f16_e32 v6, v59, v61
	v_add_f16_e32 v25, v25, v73
	v_fma_f16 v26, -0.5, v26, v69
	v_add_f16_e32 v67, v67, v68
	v_add_f16_e32 v68, v66, v64
	;; [unrolled: 1-line block ×3, first 2 shown]
	v_sub_f16_e32 v86, v64, v62
	v_add_f16_e32 v88, v64, v58
	v_sub_f16_e32 v89, v62, v64
	v_sub_f16_e32 v64, v64, v58
	;; [unrolled: 1-line block ×3, first 2 shown]
	v_add_f16_e32 v2, v2, v72
	v_add_f16_e32 v7, v7, v21
	;; [unrolled: 1-line block ×3, first 2 shown]
	v_sub_f16_e32 v72, v63, v65
	v_add_f16_e32 v27, v27, v28
	v_sub_f16_e32 v28, v61, v59
	v_sub_f16_e32 v65, v65, v59
	v_fmac_f16_e32 v69, -0.5, v55
	v_sub_f16_e32 v55, v63, v61
	v_sub_f16_e32 v91, v62, v60
	v_add_f16_e32 v63, v70, v63
	v_add_f16_e32 v5, v5, v6
	v_fma_f16 v6, -0.5, v71, v20
	v_add_f16_e32 v62, v68, v62
	v_fma_f16 v68, -0.5, v73, v66
	v_fmamk_f16 v73, v64, 0x3b9c, v26
	v_fmac_f16_e32 v20, -0.5, v21
	v_add_f16_e32 v21, v72, v28
	v_add_f16_e32 v2, v2, v82
	v_fmac_f16_e32 v66, -0.5, v88
	v_fmamk_f16 v70, v65, 0x3b9c, v3
	v_fmac_f16_e32 v3, 0xbb9c, v65
	v_fmamk_f16 v72, v55, 0xbb9c, v95
	v_fmac_f16_e32 v95, 0x3b9c, v55
	;; [unrolled: 2-line block ×3, first 2 shown]
	v_fmac_f16_e32 v26, 0xbb9c, v64
	v_sub_f16_e32 v87, v58, v60
	v_sub_f16_e32 v90, v60, v58
	v_add_f16_e32 v61, v63, v61
	v_fmamk_f16 v63, v0, 0xbb9c, v6
	v_fmac_f16_e32 v6, 0x3b9c, v0
	v_add_f16_e32 v60, v62, v60
	v_fmamk_f16 v62, v22, 0xbb9c, v68
	v_fmac_f16_e32 v73, 0x38b4, v91
	v_add_f16_e32 v25, v25, v83
	v_fmac_f16_e32 v70, 0x38b4, v55
	v_fmac_f16_e32 v3, 0xb8b4, v55
	v_fmamk_f16 v55, v1, 0x3b9c, v20
	v_fmac_f16_e32 v20, 0xbb9c, v1
	v_fmac_f16_e32 v72, 0x38b4, v65
	;; [unrolled: 1-line block ×3, first 2 shown]
	v_fmamk_f16 v65, v23, 0x3b9c, v66
	v_fmac_f16_e32 v66, 0xbb9c, v23
	v_fmac_f16_e32 v82, 0x38b4, v64
	;; [unrolled: 1-line block ×5, first 2 shown]
	v_add_f16_e32 v28, v86, v87
	v_fmac_f16_e32 v63, 0xb8b4, v1
	v_fmac_f16_e32 v6, 0x38b4, v1
	;; [unrolled: 1-line block ×4, first 2 shown]
	v_add_f16_e32 v71, v89, v90
	v_add_f16_e32 v2, v2, v84
	;; [unrolled: 1-line block ×3, first 2 shown]
	v_fmac_f16_e32 v55, 0xb8b4, v0
	v_fmac_f16_e32 v20, 0x38b4, v0
	;; [unrolled: 1-line block ×8, first 2 shown]
	v_add_f16_e32 v59, v61, v59
	v_add_f16_e32 v0, v60, v58
	v_fmac_f16_e32 v63, 0x34f2, v5
	v_fmac_f16_e32 v6, 0x34f2, v5
	v_fmac_f16_e32 v62, 0x34f2, v28
	v_mul_f16_e32 v5, 0xb8b4, v73
	v_mul_f16_e32 v23, 0x3a79, v73
	v_fmac_f16_e32 v72, 0x34f2, v7
	v_fmac_f16_e32 v95, 0x34f2, v7
	v_add_f16_e32 v1, v2, v25
	v_sub_f16_e32 v2, v2, v25
	v_fmac_f16_e32 v55, 0x34f2, v21
	v_fmac_f16_e32 v20, 0x34f2, v21
	;; [unrolled: 1-line block ×4, first 2 shown]
	v_mul_f16_e32 v7, 0xbb9c, v82
	v_mul_f16_e32 v21, 0xbb9c, v69
	;; [unrolled: 1-line block ×4, first 2 shown]
	v_fmac_f16_e32 v68, 0x34f2, v28
	v_mul_f16_e32 v22, 0xb8b4, v26
	v_mul_f16_e32 v26, 0xba79, v26
	v_fmac_f16_e32 v70, 0x34f2, v4
	v_fmac_f16_e32 v3, 0x34f2, v4
	v_add_f16_e32 v4, v59, v0
	v_sub_f16_e32 v0, v59, v0
	v_fmac_f16_e32 v5, 0x3a79, v62
	v_fmac_f16_e32 v23, 0x38b4, v62
	;; [unrolled: 1-line block ×8, first 2 shown]
	v_pack_b32_f16 v0, v0, v2
	v_add_f16_e32 v2, v63, v5
	v_add_f16_e32 v59, v70, v23
	v_pack_b32_f16 v1, v4, v1
	v_add_f16_e32 v4, v55, v7
	v_add_f16_e32 v28, v20, v21
	;; [unrolled: 1-line block ×6, first 2 shown]
	v_sub_f16_e32 v5, v63, v5
	v_sub_f16_e32 v7, v55, v7
	;; [unrolled: 1-line block ×8, first 2 shown]
	v_pack_b32_f16 v2, v2, v59
	v_pack_b32_f16 v4, v4, v60
	;; [unrolled: 1-line block ×8, first 2 shown]
	ds_store_2addr_b32 v56, v1, v2 offset1:50
	ds_store_2addr_b32 v56, v4, v25 offset0:100 offset1:150
	ds_store_2addr_b32 v56, v26, v0 offset0:200 offset1:250
	;; [unrolled: 1-line block ×4, first 2 shown]
	global_wb scope:SCOPE_SE
	s_wait_dscnt 0x0
	s_barrier_signal -1
	s_barrier_wait -1
	global_inv scope:SCOPE_SE
	ds_load_2addr_b32 v[0:1], v47 offset1:250
	ds_load_2addr_b32 v[2:3], v52 offset0:4 offset1:254
	ds_load_2addr_b32 v[4:5], v53 offset1:250
	ds_load_2addr_b32 v[6:7], v51 offset0:4 offset1:254
	ds_load_2addr_b32 v[20:21], v46 offset1:250
	v_mad_co_u64_u32 v[22:23], null, s7, v24, v[17:18]
	s_delay_alu instid0(VALU_DEP_1)
	v_mov_b32_e32 v17, v22
	s_wait_dscnt 0x4
	v_lshrrev_b32_e32 v22, 16, v0
	s_wait_dscnt 0x3
	v_mul_f16_e32 v57, v78, v2
	s_wait_dscnt 0x2
	v_mul_f16_e32 v58, v79, v4
	s_wait_dscnt 0x1
	v_lshrrev_b32_e32 v25, 16, v6
	s_wait_dscnt 0x0
	v_mad_co_u64_u32 v[23:24], null, s5, v54, v[19:20]
	v_lshrrev_b32_e32 v24, 16, v4
	v_lshrrev_b32_e32 v26, 16, v20
	v_mul_f16_e32 v59, v80, v6
	v_lshrrev_b32_e32 v28, 16, v3
	v_lshrrev_b32_e32 v54, 16, v5
	;; [unrolled: 1-line block ×3, first 2 shown]
	v_mov_b32_e32 v19, v23
	v_lshrrev_b32_e32 v23, 16, v2
	v_mul_f16_e32 v60, v81, v20
	v_mul_f16_e32 v61, v74, v3
	;; [unrolled: 1-line block ×3, first 2 shown]
	v_lshrrev_b32_e32 v56, 16, v21
	v_mul_f16_e32 v63, v76, v7
	v_mul_f16_e32 v64, v77, v21
	;; [unrolled: 1-line block ×3, first 2 shown]
	v_fma_f16 v23, v12, v23, -v57
	v_mul_f16_e32 v57, v79, v24
	v_fma_f16 v24, v13, v24, -v58
	v_mul_f16_e32 v58, v80, v25
	;; [unrolled: 2-line block ×6, first 2 shown]
	v_lshrrev_b32_e32 v27, 16, v1
	v_fma_f16 v55, v10, v55, -v63
	v_mul_f16_e32 v63, v77, v56
	v_fma_f16 v56, v11, v56, -v64
	v_fmac_f16_e32 v65, v12, v2
	v_fmac_f16_e32 v57, v13, v4
	v_fmac_f16_e32 v58, v14, v6
	v_fmac_f16_e32 v59, v15, v20
	v_fmac_f16_e32 v60, v8, v3
	v_fmac_f16_e32 v61, v9, v5
	v_fmac_f16_e32 v62, v10, v7
	v_add_f16_e32 v4, v22, v23
	v_add_f16_e32 v5, v24, v25
	v_sub_f16_e32 v6, v23, v24
	v_sub_f16_e32 v7, v26, v25
	v_add_f16_e32 v8, v23, v26
	v_sub_f16_e32 v9, v24, v23
	v_sub_f16_e32 v10, v25, v26
	v_fmac_f16_e32 v63, v11, v21
	v_sub_f16_e32 v2, v23, v26
	v_sub_f16_e32 v11, v28, v56
	v_add_f16_e32 v13, v27, v28
	v_add_f16_e32 v14, v54, v55
	v_sub_f16_e32 v15, v28, v54
	v_sub_f16_e32 v20, v56, v55
	v_add_f16_e32 v21, v28, v56
	v_sub_f16_e32 v23, v54, v28
	v_sub_f16_e32 v28, v55, v56
	v_add_f16_e32 v64, v0, v65
	v_add_f16_e32 v66, v57, v58
	v_add_f16_e32 v69, v65, v59
	v_sub_f16_e32 v3, v24, v25
	v_sub_f16_e32 v67, v65, v57
	;; [unrolled: 1-line block ×3, first 2 shown]
	v_add_f16_e32 v4, v4, v24
	v_fma_f16 v5, -0.5, v5, v22
	v_sub_f16_e32 v24, v65, v59
	v_sub_f16_e32 v65, v57, v58
	v_add_f16_e32 v6, v6, v7
	v_fmac_f16_e32 v22, -0.5, v8
	v_add_f16_e32 v7, v9, v10
	v_add_f16_e32 v9, v61, v62
	;; [unrolled: 1-line block ×3, first 2 shown]
	v_fma_f16 v14, -0.5, v14, v27
	v_add_f16_e32 v15, v15, v20
	v_fmac_f16_e32 v27, -0.5, v21
	v_add_f16_e32 v20, v23, v28
	v_add_f16_e32 v21, v64, v57
	v_fma_f16 v23, -0.5, v66, v0
	v_sub_f16_e32 v68, v59, v58
	v_fma_f16 v0, -0.5, v69, v0
	v_sub_f16_e32 v12, v54, v55
	v_add_f16_e32 v8, v1, v60
	v_add_f16_e32 v13, v13, v54
	v_sub_f16_e32 v54, v60, v63
	v_fmamk_f16 v64, v65, 0xbb9c, v22
	v_fmac_f16_e32 v22, 0x3b9c, v65
	v_fma_f16 v9, -0.5, v9, v1
	v_sub_f16_e32 v71, v58, v59
	v_sub_f16_e32 v10, v60, v61
	;; [unrolled: 1-line block ×4, first 2 shown]
	v_add_f16_e32 v4, v4, v25
	v_fmamk_f16 v25, v24, 0x3b9c, v5
	v_fmac_f16_e32 v1, -0.5, v73
	v_add_f16_e32 v21, v21, v58
	v_fmamk_f16 v58, v2, 0xbb9c, v23
	v_add_f16_e32 v28, v67, v68
	v_fmamk_f16 v67, v3, 0x3b9c, v0
	v_fmac_f16_e32 v0, 0xbb9c, v3
	v_fmac_f16_e32 v5, 0xbb9c, v24
	;; [unrolled: 1-line block ×3, first 2 shown]
	v_sub_f16_e32 v72, v63, v62
	v_add_f16_e32 v8, v8, v61
	v_add_f16_e32 v13, v13, v55
	v_fmamk_f16 v55, v54, 0x3b9c, v14
	v_fmac_f16_e32 v64, 0x38b4, v24
	v_fmac_f16_e32 v22, 0xb8b4, v24
	v_fmamk_f16 v24, v11, 0xbb9c, v9
	v_sub_f16_e32 v75, v62, v63
	v_fmac_f16_e32 v14, 0xbb9c, v54
	v_fmamk_f16 v66, v60, 0xbb9c, v27
	v_fmac_f16_e32 v27, 0x3b9c, v60
	v_add_f16_e32 v4, v4, v26
	v_fmac_f16_e32 v25, 0x38b4, v65
	v_fmac_f16_e32 v9, 0x3b9c, v11
	v_fmamk_f16 v26, v12, 0x3b9c, v1
	v_fmac_f16_e32 v1, 0xbb9c, v12
	v_fmac_f16_e32 v58, 0xb8b4, v3
	v_add_f16_e32 v57, v70, v71
	v_fmac_f16_e32 v67, 0xb8b4, v2
	v_fmac_f16_e32 v0, 0x38b4, v2
	;; [unrolled: 1-line block ×4, first 2 shown]
	v_add_f16_e32 v10, v10, v72
	v_add_f16_e32 v8, v8, v62
	v_fmac_f16_e32 v55, 0x38b4, v60
	v_fmac_f16_e32 v24, 0xb8b4, v12
	v_add_f16_e32 v61, v74, v75
	v_fmac_f16_e32 v14, 0xb8b4, v60
	v_fmac_f16_e32 v66, 0x38b4, v54
	;; [unrolled: 1-line block ×3, first 2 shown]
	v_add_f16_e32 v21, v21, v59
	v_fmac_f16_e32 v25, 0x34f2, v6
	v_fmac_f16_e32 v9, 0x38b4, v12
	;; [unrolled: 1-line block ×11, first 2 shown]
	v_add_f16_e32 v13, v13, v56
	v_add_f16_e32 v2, v8, v63
	v_fmac_f16_e32 v55, 0x34f2, v15
	v_fmac_f16_e32 v24, 0x34f2, v10
	;; [unrolled: 1-line block ×8, first 2 shown]
	v_pack_b32_f16 v3, v21, v4
	v_pack_b32_f16 v4, v58, v25
	;; [unrolled: 1-line block ×10, first 2 shown]
	ds_store_b32 v47, v4 offset:2000
	ds_store_b32 v47, v6 offset:4000
	;; [unrolled: 1-line block ×4, first 2 shown]
	ds_store_2addr_b32 v47, v3, v2 offset1:250
	ds_store_b32 v47, v7 offset:3000
	ds_store_b32 v47, v8 offset:5000
	;; [unrolled: 1-line block ×4, first 2 shown]
	global_wb scope:SCOPE_SE
	s_wait_dscnt 0x0
	s_barrier_signal -1
	s_barrier_wait -1
	global_inv scope:SCOPE_SE
	ds_load_2addr_b32 v[6:7], v47 offset1:250
	ds_load_2addr_b32 v[8:9], v52 offset0:4 offset1:254
	ds_load_2addr_b32 v[10:11], v53 offset1:250
	ds_load_2addr_b32 v[12:13], v51 offset0:4 offset1:254
	v_lshlrev_b64_e32 v[0:1], 2, v[16:17]
	v_lshlrev_b64_e32 v[2:3], 2, v[18:19]
	s_delay_alu instid0(VALU_DEP_2) | instskip(SKIP_1) | instid1(VALU_DEP_3)
	v_add_co_u32 v0, vcc_lo, s0, v0
	s_wait_alu 0xfffd
	v_add_co_ci_u32_e32 v1, vcc_lo, s1, v1, vcc_lo
	s_delay_alu instid0(VALU_DEP_2) | instskip(SKIP_1) | instid1(VALU_DEP_2)
	v_add_co_u32 v0, vcc_lo, v0, v2
	s_wait_alu 0xfffd
	v_add_co_ci_u32_e32 v1, vcc_lo, v1, v3, vcc_lo
	ds_load_2addr_b32 v[2:3], v46 offset1:250
	v_add_co_u32 v4, vcc_lo, v0, s30
	s_wait_dscnt 0x4
	v_lshrrev_b32_e32 v14, 16, v6
	v_mul_f16_e32 v15, v45, v6
	v_lshrrev_b32_e32 v16, 16, v7
	v_mul_f16_e32 v17, v44, v7
	s_wait_dscnt 0x3
	v_lshrrev_b32_e32 v18, 16, v8
	v_mul_f16_e32 v45, v45, v14
	v_fma_f16 v14, v32, v14, -v15
	v_mul_f16_e32 v19, v43, v8
	v_lshrrev_b32_e32 v21, 16, v9
	v_mul_f16_e32 v22, v42, v9
	v_mul_f16_e32 v15, v44, v16
	v_fma_f16 v16, v29, v16, -v17
	v_cvt_f32_f16_e32 v14, v14
	s_wait_dscnt 0x2
	v_lshrrev_b32_e32 v23, 16, v10
	v_mul_f16_e32 v24, v41, v10
	v_lshrrev_b32_e32 v25, 16, v11
	v_mul_f16_e32 v26, v38, v11
	s_wait_dscnt 0x1
	v_lshrrev_b32_e32 v27, 16, v12
	v_mul_f16_e32 v43, v43, v18
	v_fma_f16 v17, v30, v18, -v19
	v_mul_f16_e32 v18, v42, v21
	v_fma_f16 v19, v31, v21, -v22
	v_cvt_f32_f16_e32 v16, v16
	v_cvt_f64_f32_e32 v[21:22], v14
	v_mul_f16_e32 v28, v39, v12
	v_mul_f16_e32 v41, v41, v23
	v_fma_f16 v23, v33, v23, -v24
	v_mul_f16_e32 v24, v38, v25
	v_fma_f16 v25, v34, v25, -v26
	v_mul_f16_e32 v26, v39, v27
	v_fmac_f16_e32 v45, v32, v6
	v_cvt_f32_f16_e32 v6, v17
	v_cvt_f64_f32_e32 v[38:39], v16
	v_cvt_f32_f16_e32 v17, v19
	v_fmac_f16_e32 v43, v30, v8
	v_fmac_f16_e32 v18, v31, v9
	v_cvt_f64_f32_e32 v[8:9], v6
	v_fmac_f16_e32 v15, v29, v7
	v_cvt_f32_f16_e32 v7, v23
	v_cvt_f64_f32_e32 v[51:52], v17
	v_lshrrev_b32_e32 v46, 16, v13
	v_mul_f16_e32 v47, v37, v13
	v_fma_f16 v27, v35, v27, -v28
	v_cvt_f32_f16_e32 v6, v25
	v_cvt_f64_f32_e32 v[16:17], v7
	s_wait_dscnt 0x0
	v_lshrrev_b32_e32 v20, 16, v2
	v_mul_f16_e32 v28, v37, v46
	v_fma_f16 v37, v36, v46, -v47
	v_fmac_f16_e32 v41, v33, v10
	v_fmac_f16_e32 v24, v34, v11
	;; [unrolled: 1-line block ×3, first 2 shown]
	v_cvt_f32_f16_e32 v12, v27
	v_cvt_f64_f32_e32 v[10:11], v6
	v_mul_f16_e32 v42, v40, v20
	v_cvt_f32_f16_e32 v7, v37
	v_cvt_f32_f16_e32 v6, v15
	v_cvt_f64_f32_e32 v[14:15], v12
	v_cvt_f32_f16_e32 v32, v24
	v_fmac_f16_e32 v42, v50, v2
	v_fmac_f16_e32 v28, v36, v13
	v_cvt_f32_f16_e32 v19, v45
	v_cvt_f64_f32_e32 v[12:13], v7
	v_cvt_f32_f16_e32 v23, v43
	v_cvt_f32_f16_e32 v7, v42
	v_cvt_f64_f32_e32 v[32:33], v32
	v_mul_f64_e32 v[42:43], s[28:29], v[21:22]
	v_cvt_f32_f16_e32 v29, v18
	v_cvt_f64_f32_e32 v[18:19], v19
	v_cvt_f64_f32_e32 v[46:47], v7
	;; [unrolled: 1-line block ×3, first 2 shown]
	v_mul_f64_e32 v[38:39], s[28:29], v[38:39]
	v_cvt_f32_f16_e32 v34, v26
	v_cvt_f64_f32_e32 v[26:27], v23
	v_cvt_f32_f16_e32 v30, v41
	v_mul_f64_e32 v[44:45], s[28:29], v[8:9]
	v_mul_f16_e32 v2, v40, v2
	v_cvt_f32_f16_e32 v36, v28
	v_mul_f64_e32 v[40:41], s[28:29], v[51:52]
	v_cvt_f64_f32_e32 v[28:29], v29
	s_wait_alu 0xfffd
	v_add_co_ci_u32_e32 v5, vcc_lo, s31, v1, vcc_lo
	v_fma_f16 v2, v50, v20, -v2
	v_mul_f64_e32 v[50:51], s[28:29], v[16:17]
	v_cvt_f64_f32_e32 v[30:31], v30
	v_cvt_f64_f32_e32 v[34:35], v34
	v_add_co_u32 v6, vcc_lo, v4, s30
	s_wait_alu 0xfffd
	v_add_co_ci_u32_e32 v7, vcc_lo, s31, v5, vcc_lo
	v_cvt_f64_f32_e32 v[36:37], v36
	v_mul_f64_e32 v[52:53], s[28:29], v[10:11]
	v_add_co_u32 v8, vcc_lo, v6, s30
	s_wait_alu 0xfffd
	v_add_co_ci_u32_e32 v9, vcc_lo, s31, v7, vcc_lo
	v_mul_f64_e32 v[22:23], s[28:29], v[14:15]
	s_delay_alu instid0(VALU_DEP_3) | instskip(SKIP_1) | instid1(VALU_DEP_3)
	v_add_co_u32 v16, vcc_lo, v8, s30
	s_wait_alu 0xfffd
	v_add_co_ci_u32_e32 v17, vcc_lo, s31, v9, vcc_lo
	v_mul_f64_e32 v[14:15], s[28:29], v[12:13]
	s_delay_alu instid0(VALU_DEP_3)
	v_add_co_u32 v10, vcc_lo, v16, s30
	v_mul_f64_e32 v[64:65], s[28:29], v[32:33]
	v_and_or_b32 v33, 0x1ff, v43, v42
	v_mul_f64_e32 v[54:55], s[28:29], v[18:19]
	s_wait_alu 0xfffd
	v_add_co_ci_u32_e32 v11, vcc_lo, s31, v17, vcc_lo
	v_mul_f64_e32 v[12:13], s[28:29], v[46:47]
	v_and_or_b32 v47, 0x1ff, v39, v38
	v_cmp_ne_u32_e32 vcc_lo, 0, v33
	v_mul_f64_e32 v[56:57], s[28:29], v[24:25]
	v_and_or_b32 v44, 0x1ff, v45, v44
	v_mul_f64_e32 v[58:59], s[28:29], v[26:27]
	v_lshrrev_b32_e32 v69, 8, v45
	s_wait_alu 0xfffd
	v_cndmask_b32_e64 v33, 0, 1, vcc_lo
	v_cmp_ne_u32_e32 vcc_lo, 0, v47
	v_bfe_u32 v32, v45, 20, 11
	v_lshrrev_b32_e32 v26, 16, v45
	v_and_or_b32 v45, 0x1ff, v41, v40
	v_mul_f64_e32 v[60:61], s[28:29], v[28:29]
	s_wait_alu 0xfffd
	v_cndmask_b32_e64 v47, 0, 1, vcc_lo
	v_cmp_ne_u32_e32 vcc_lo, 0, v44
	v_and_or_b32 v50, 0x1ff, v51, v50
	v_mul_f64_e32 v[62:63], s[28:29], v[30:31]
	v_mul_f64_e32 v[66:67], s[28:29], v[34:35]
	v_lshrrev_b32_e32 v71, 8, v51
	s_wait_alu 0xfffd
	v_cndmask_b32_e64 v44, 0, 1, vcc_lo
	v_cmp_ne_u32_e32 vcc_lo, 0, v45
	v_bfe_u32 v35, v51, 20, 11
	v_lshrrev_b32_e32 v28, 16, v51
	v_and_or_b32 v51, 0x1ff, v53, v52
	v_mul_f64_e32 v[18:19], s[28:29], v[36:37]
	s_wait_alu 0xfffd
	v_cndmask_b32_e64 v45, 0, 1, vcc_lo
	v_cmp_ne_u32_e32 vcc_lo, 0, v50
	v_lshrrev_b32_e32 v52, 8, v53
	v_bfe_u32 v36, v53, 20, 11
	v_lshrrev_b32_e32 v29, 16, v53
	v_and_or_b32 v53, 0x1ff, v23, v22
	s_wait_alu 0xfffd
	v_cndmask_b32_e64 v50, 0, 1, vcc_lo
	v_cmp_ne_u32_e32 vcc_lo, 0, v51
	v_and_or_b32 v73, 0x1ff, v15, v14
	v_lshrrev_b32_e32 v68, 8, v39
	v_and_or_b32 v54, 0x1ff, v55, v54
	v_and_or_b32 v64, 0x1ff, v65, v64
	s_wait_alu 0xfffd
	v_cndmask_b32_e64 v51, 0, 1, vcc_lo
	v_cmp_ne_u32_e32 vcc_lo, 0, v53
	v_and_or_b32 v47, 0xffe, v68, v47
	v_and_or_b32 v68, 0xffe, v69, v44
	;; [unrolled: 1-line block ×3, first 2 shown]
	v_lshrrev_b32_e32 v46, 8, v43
	s_wait_alu 0xfffd
	v_cndmask_b32_e64 v53, 0, 1, vcc_lo
	v_cmp_ne_u32_e32 vcc_lo, 0, v73
	v_and_or_b32 v58, 0x1ff, v59, v58
	v_bfe_u32 v30, v43, 20, 11
	v_and_or_b32 v46, 0xffe, v46, v33
	v_and_or_b32 v51, 0xffe, v52, v51
	s_wait_alu 0xfffd
	v_cndmask_b32_e64 v73, 0, 1, vcc_lo
	v_cmp_ne_u32_e32 vcc_lo, 0, v54
	v_and_or_b32 v60, 0x1ff, v61, v60
	v_bfe_u32 v31, v39, 20, 11
	v_bfe_u32 v34, v41, 20, 11
	v_and_or_b32 v62, 0x1ff, v63, v62
	s_wait_alu 0xfffd
	v_cndmask_b32_e64 v54, 0, 1, vcc_lo
	v_cmp_ne_u32_e32 vcc_lo, 0, v56
	v_and_or_b32 v66, 0x1ff, v67, v66
	v_bfe_u32 v76, v55, 20, 11
	v_add_nc_u32_e32 v37, 0xfffffc10, v30
	v_lshrrev_b32_e32 v77, 8, v57
	s_wait_alu 0xfffd
	v_cndmask_b32_e64 v56, 0, 1, vcc_lo
	v_cmp_ne_u32_e32 vcc_lo, 0, v58
	v_and_or_b32 v89, 0x1ff, v19, v18
	v_lshrrev_b32_e32 v81, 8, v61
	v_lshrrev_b32_e32 v87, 8, v67
	;; [unrolled: 1-line block ×3, first 2 shown]
	s_wait_alu 0xfffd
	v_cndmask_b32_e64 v58, 0, 1, vcc_lo
	v_cmp_ne_u32_e32 vcc_lo, 0, v60
	v_lshrrev_b32_e32 v25, 16, v39
	v_lshrrev_b32_e32 v70, 8, v41
	;; [unrolled: 1-line block ×4, first 2 shown]
	s_wait_alu 0xfffd
	v_cndmask_b32_e64 v44, 0, 1, vcc_lo
	v_cmp_ne_u32_e32 vcc_lo, 0, v62
	v_lshrrev_b32_e32 v22, 16, v55
	v_sub_nc_u32_e32 v55, 0x3f1, v30
	v_bfe_u32 v78, v57, 20, 11
	v_lshrrev_b32_e32 v30, 16, v57
	s_wait_alu 0xfffd
	v_cndmask_b32_e64 v60, 0, 1, vcc_lo
	v_cmp_ne_u32_e32 vcc_lo, 0, v64
	v_sub_nc_u32_e32 v57, 0x3f1, v31
	v_add_nc_u32_e32 v38, 0xfffffc10, v31
	v_lshrrev_b32_e32 v79, 8, v59
	v_bfe_u32 v80, v59, 20, 11
	s_wait_alu 0xfffd
	v_cndmask_b32_e64 v62, 0, 1, vcc_lo
	v_cmp_ne_u32_e32 vcc_lo, 0, v66
	v_lshrrev_b32_e32 v31, 16, v59
	v_sub_nc_u32_e32 v59, 0x3f1, v32
	v_add_nc_u32_e32 v39, 0xfffffc10, v32
	v_bfe_u32 v82, v61, 20, 11
	s_wait_alu 0xfffd
	v_cndmask_b32_e64 v52, 0, 1, vcc_lo
	v_cmp_ne_u32_e32 vcc_lo, 0, v89
	v_lshrrev_b32_e32 v32, 16, v61
	v_sub_nc_u32_e32 v61, 0x3f1, v34
	v_add_nc_u32_e32 v40, 0xfffffc10, v34
	v_lshrrev_b32_e32 v83, 8, v63
	s_wait_alu 0xfffd
	v_cndmask_b32_e64 v64, 0, 1, vcc_lo
	v_cmp_ne_u32_e32 vcc_lo, 0, v46
	v_bfe_u32 v84, v63, 20, 11
	v_lshrrev_b32_e32 v34, 16, v63
	v_sub_nc_u32_e32 v63, 0x3f1, v35
	v_add_nc_u32_e32 v41, 0xfffffc10, v35
	v_lshrrev_b32_e32 v85, 8, v65
	v_bfe_u32 v86, v65, 20, 11
	v_lshrrev_b32_e32 v35, 16, v65
	v_sub_nc_u32_e32 v65, 0x3f1, v36
	v_sub_nc_u32_e32 v91, 0x3f1, v76
	v_and_or_b32 v56, 0xffe, v77, v56
	v_and_or_b32 v77, 0xffe, v81, v44
	;; [unrolled: 1-line block ×4, first 2 shown]
	v_or_b32_e32 v64, 0x1000, v46
	v_lshl_or_b32 v87, v37, 12, v46
	s_wait_alu 0xfffd
	v_cndmask_b32_e64 v46, 0, 1, vcc_lo
	v_cmp_ne_u32_e32 vcc_lo, 0, v47
	v_sub_nc_u32_e32 v92, 0x3f1, v78
	v_med3_i32 v65, v65, 0, 13
	v_and_or_b32 v45, 0xffe, v70, v45
	v_med3_i32 v66, v91, 0, 13
	v_and_or_b32 v60, 0xffe, v83, v60
	v_or_b32_e32 v83, 0x1000, v51
	v_or_b32_e32 v90, 0x1000, v47
	v_lshl_or_b32 v91, v38, 12, v47
	s_wait_alu 0xfffd
	v_cndmask_b32_e64 v47, 0, 1, vcc_lo
	v_cmp_ne_u32_e32 vcc_lo, 0, v68
	v_bfe_u32 v88, v67, 20, 11
	v_sub_nc_u32_e32 v93, 0x3f1, v80
	v_and_or_b32 v50, 0xffe, v71, v50
	v_med3_i32 v69, v92, 0, 13
	v_and_or_b32 v54, 0xffe, v75, v54
	v_or_b32_e32 v75, 0x1000, v68
	v_lshl_or_b32 v92, v39, 12, v68
	s_wait_alu 0xfffd
	v_cndmask_b32_e64 v68, 0, 1, vcc_lo
	v_cmp_ne_u32_e32 vcc_lo, 0, v45
	v_lshrrev_b32_e32 v100, v65, v83
	v_lshrrev_b32_e32 v72, 8, v23
	v_lshrrev_b32_e32 v74, 8, v15
	v_bfe_u32 v18, v19, 20, 11
	v_med3_i32 v59, v59, 0, 13
	v_sub_nc_u32_e32 v94, 0x3f1, v82
	v_sub_nc_u32_e32 v97, 0x3f1, v88
	v_add_nc_u32_e32 v88, 0xfffffc10, v88
	v_med3_i32 v70, v93, 0, 13
	v_and_or_b32 v58, 0xffe, v79, v58
	v_or_b32_e32 v79, 0x1000, v45
	v_lshl_or_b32 v93, v40, 12, v45
	s_wait_alu 0xfffd
	v_cndmask_b32_e64 v45, 0, 1, vcc_lo
	v_cmp_ne_u32_e32 vcc_lo, 0, v50
	v_lshlrev_b32_e32 v65, v65, v100
	v_lshrrev_b32_e32 v24, 16, v43
	v_bfe_u32 v43, v23, 20, 11
	v_sub_nc_u32_e32 v95, 0x3f1, v84
	v_sub_nc_u32_e32 v98, 0x3f1, v18
	v_add_nc_u32_e32 v18, 0xfffffc10, v18
	v_and_or_b32 v53, 0xffe, v72, v53
	v_and_or_b32 v33, 0xffe, v74, v73
	v_med3_i32 v71, v94, 0, 13
	v_med3_i32 v74, v97, 0, 13
	v_or_b32_e32 v81, 0x1000, v50
	v_lshl_or_b32 v94, v41, 12, v50
	s_wait_alu 0xfffd
	v_cndmask_b32_e64 v50, 0, 1, vcc_lo
	v_cmp_ne_u32_e32 vcc_lo, 0, v51
	v_lshrrev_b32_e32 v97, v59, v75
	v_cmp_ne_u32_e64 s2, v65, v83
	v_lshl_or_b32 v65, v88, 12, v52
	v_add_nc_u32_e32 v42, 0xfffffc10, v36
	v_lshrrev_b32_e32 v36, 16, v67
	v_sub_nc_u32_e32 v67, 0x3f1, v43
	v_add_nc_u32_e32 v43, 0xfffffc10, v43
	v_med3_i32 v61, v61, 0, 13
	v_sub_nc_u32_e32 v96, 0x3f1, v86
	v_med3_i32 v72, v95, 0, 13
	v_lshl_or_b32 v95, v42, 12, v51
	s_wait_alu 0xfffd
	v_cndmask_b32_e64 v51, 0, 1, vcc_lo
	v_cmp_ne_u32_e32 vcc_lo, 0, v53
	v_lshlrev_b32_e32 v59, v59, v97
	v_lshl_or_b32 v83, v18, 12, v44
	v_add_nc_u32_e32 v76, 0xfffffc10, v76
	v_cmp_ne_u32_e64 s3, 0, v54
	v_med3_i32 v73, v96, 0, 13
	v_med3_i32 v89, v98, 0, 13
	v_and_or_b32 v62, 0xffe, v85, v62
	v_or_b32_e32 v85, 0x1000, v53
	v_lshl_or_b32 v96, v43, 12, v53
	s_wait_alu 0xfffd
	v_cndmask_b32_e64 v53, 0, 1, vcc_lo
	v_lshrrev_b32_e32 v98, v61, v79
	v_or_b32_e32 v101, 0x1000, v54
	v_cmp_ne_u32_e32 vcc_lo, v59, v75
	v_lshl_or_b32 v59, v76, 12, v54
	s_wait_alu 0xf1fe
	v_cndmask_b32_e64 v54, 0, 1, s3
	v_cmp_ne_u32_e64 s3, 0, v56
	v_lshl_or_b32 v68, v68, 9, 0x7c00
	v_add_nc_u32_e32 v78, 0xfffffc10, v78
	v_med3_i32 v63, v63, 0, 13
	v_or_b32_e32 v103, 0x1000, v56
	v_lshlrev_b32_e32 v61, v61, v98
	v_lshl_or_b32 v46, v46, 9, 0x7c00
	v_add_nc_u32_e32 v80, 0xfffffc10, v80
	v_lshl_or_b32 v75, v78, 12, v56
	s_wait_alu 0xf1ff
	v_cndmask_b32_e64 v56, 0, 1, s3
	v_cmp_ne_u32_e64 s3, 0, v58
	v_med3_i32 v55, v55, 0, 13
	v_med3_i32 v57, v57, 0, 13
	;; [unrolled: 1-line block ×3, first 2 shown]
	v_lshrrev_b32_e32 v99, v63, v81
	v_or_b32_e32 v104, 0x1000, v58
	v_cmp_ne_u32_e64 s0, v61, v79
	v_lshl_or_b32 v61, v80, 12, v58
	s_wait_alu 0xf1ff
	v_cndmask_b32_e64 v58, 0, 1, s3
	v_cmp_ne_u32_e64 s3, 0, v77
	v_lshl_or_b32 v53, v53, 9, 0x7c00
	v_add_nc_u32_e32 v82, 0xfffffc10, v82
	v_lshrrev_b32_e32 v102, v67, v85
	v_or_b32_e32 v105, 0x1000, v77
	v_lshrrev_b32_e32 v110, v55, v64
	v_lshrrev_b32_e32 v111, v57, v90
	v_lshlrev_b32_e32 v63, v63, v99
	v_lshl_or_b32 v79, v82, 12, v77
	s_wait_alu 0xf1ff
	v_cndmask_b32_e64 v77, 0, 1, s3
	v_cmp_ne_u32_e64 s3, 0, v60
	v_lshl_or_b32 v50, v50, 9, 0x7c00
	v_add_nc_u32_e32 v84, 0xfffffc10, v84
	v_or_b32_e32 v106, 0x1000, v60
	v_cmp_ne_u32_e64 s1, v63, v81
	v_lshlrev_b32_e32 v67, v67, v102
	v_lshlrev_b32_e32 v57, v57, v111
	v_lshl_or_b32 v63, v84, 12, v60
	s_wait_alu 0xf1ff
	v_cndmask_b32_e64 v60, 0, 1, s3
	v_cmp_ne_u32_e64 s3, 0, v62
	v_cmp_ne_u32_e64 s4, 0, v52
	v_lshlrev_b32_e32 v55, v55, v110
	v_lshl_or_b32 v56, v56, 9, 0x7c00
	v_add_nc_u32_e32 v86, 0xfffffc10, v86
	v_or_b32_e32 v107, 0x1000, v62
	v_or_b32_e32 v108, 0x1000, v52
	s_wait_alu 0xf1ff
	v_cndmask_b32_e64 v52, 0, 1, s4
	v_cmp_ne_u32_e64 s4, v57, v90
	v_lshl_or_b32 v81, v86, 12, v62
	v_cndmask_b32_e64 v62, 0, 1, s3
	v_cmp_ne_u32_e64 s3, v67, v85
	v_lshrrev_b32_e32 v67, v66, v101
	v_lshrrev_b32_e32 v57, v70, v104
	v_cmp_ne_u32_e64 s7, v55, v64
	v_lshrrev_b32_e32 v90, v71, v105
	v_lshrrev_b32_e32 v85, v69, v103
	v_lshlrev_b32_e32 v66, v66, v67
	v_lshlrev_b32_e32 v70, v70, v57
	s_wait_alu 0xf1ff
	v_cndmask_b32_e64 v55, 0, 1, s7
	v_lshlrev_b32_e32 v71, v71, v90
	v_lshlrev_b32_e32 v69, v69, v85
	v_cmp_ne_u32_e64 s5, v66, v101
	v_lshrrev_b32_e32 v66, v72, v106
	v_or_b32_e32 v55, v110, v55
	s_wait_alu 0xfffd
	v_cndmask_b32_e64 v110, 0, 1, vcc_lo
	v_cmp_ne_u32_e32 vcc_lo, v70, v104
	v_lshrrev_b32_e32 v101, v73, v107
	v_lshlrev_b32_e32 v72, v72, v66
	v_or_b32_e32 v109, 0x1000, v44
	v_cmp_ne_u32_e64 s6, v69, v103
	s_wait_alu 0xfffd
	v_cndmask_b32_e64 v70, 0, 1, vcc_lo
	v_cmp_ne_u32_e32 vcc_lo, v71, v105
	v_lshrrev_b32_e32 v69, v74, v108
	v_lshlrev_b32_e32 v73, v73, v101
	v_lshrrev_b32_e32 v103, v89, v109
	v_cndmask_b32_e64 v64, 0, 1, s4
	s_wait_alu 0xfffd
	v_cndmask_b32_e64 v71, 0, 1, vcc_lo
	v_cmp_ne_u32_e32 vcc_lo, v72, v106
	v_lshlrev_b32_e32 v74, v74, v69
	v_lshlrev_b32_e32 v89, v89, v103
	v_or_b32_e32 v64, v111, v64
	v_cndmask_b32_e64 v111, 0, 1, s0
	s_wait_alu 0xfffd
	v_cndmask_b32_e64 v72, 0, 1, vcc_lo
	v_cmp_ne_u32_e32 vcc_lo, v73, v107
	v_or_b32_e32 v97, v97, v110
	v_cndmask_b32_e64 v110, 0, 1, s1
	v_or_b32_e32 v98, v98, v111
	v_or_b32_e32 v57, v57, v70
	s_wait_alu 0xfffd
	v_cndmask_b32_e64 v73, 0, 1, vcc_lo
	v_cmp_ne_u32_e32 vcc_lo, v74, v108
	v_cndmask_b32_e64 v111, 0, 1, s2
	v_or_b32_e32 v99, v99, v110
	v_cndmask_b32_e64 v110, 0, 1, s3
	v_or_b32_e32 v66, v66, v72
	s_wait_alu 0xfffd
	v_cndmask_b32_e64 v74, 0, 1, vcc_lo
	v_cmp_ne_u32_e32 vcc_lo, v89, v109
	v_or_b32_e32 v100, v100, v111
	s_wait_alu 0xf1ff
	v_cndmask_b32_e64 v111, 0, 1, s5
	v_or_b32_e32 v102, v102, v110
	v_or_b32_e32 v71, v90, v71
	s_wait_alu 0xfffd
	v_cndmask_b32_e64 v89, 0, 1, vcc_lo
	v_cmp_gt_i32_e32 vcc_lo, 1, v37
	v_cndmask_b32_e64 v110, 0, 1, s6
	v_or_b32_e32 v67, v67, v111
	v_or_b32_e32 v69, v69, v74
	v_or_b32_e32 v73, v101, v73
	s_wait_alu 0xfffd
	v_cndmask_b32_e32 v55, v87, v55, vcc_lo
	v_cmp_gt_i32_e32 vcc_lo, 1, v38
	v_or_b32_e32 v85, v85, v110
	v_or_b32_e32 v89, v103, v89
	v_lshl_or_b32 v47, v47, 9, 0x7c00
	v_lshl_or_b32 v45, v45, 9, 0x7c00
	s_wait_alu 0xfffd
	v_cndmask_b32_e32 v64, v91, v64, vcc_lo
	v_cmp_gt_i32_e32 vcc_lo, 1, v39
	v_lshl_or_b32 v51, v51, 9, 0x7c00
	v_lshl_or_b32 v54, v54, 9, 0x7c00
	v_lshl_or_b32 v58, v58, 9, 0x7c00
	v_lshl_or_b32 v77, v77, 9, 0x7c00
	s_wait_alu 0xfffd
	v_cndmask_b32_e32 v70, v92, v97, vcc_lo
	v_cmp_gt_i32_e32 vcc_lo, 1, v40
	v_lshl_or_b32 v60, v60, 9, 0x7c00
	v_cvt_f32_f16_e32 v20, v2
	v_lshl_or_b32 v62, v62, 9, 0x7c00
	v_lshrrev_b32_e32 v2, 16, v3
	s_wait_alu 0xfffd
	v_cndmask_b32_e32 v87, v93, v98, vcc_lo
	v_cmp_gt_i32_e32 vcc_lo, 1, v41
	v_cvt_f64_f32_e32 v[20:21], v20
	v_bfe_u32 v14, v15, 20, 11
	v_lshl_or_b32 v52, v52, 9, 0x7c00
	v_lshrrev_b32_e32 v15, 16, v15
	s_wait_alu 0xfffd
	v_cndmask_b32_e32 v72, v94, v99, vcc_lo
	v_cmp_gt_i32_e32 vcc_lo, 1, v42
	s_wait_alu 0xfffd
	v_cndmask_b32_e32 v90, v95, v100, vcc_lo
	v_cmp_gt_i32_e32 vcc_lo, 1, v43
	;; [unrolled: 3-line block ×4, first 2 shown]
	v_and_b32_e32 v67, 7, v55
	v_lshrrev_b32_e32 v55, 2, v55
	s_wait_alu 0xfffd
	v_cndmask_b32_e32 v75, v75, v85, vcc_lo
	v_cmp_gt_i32_e32 vcc_lo, 1, v80
	v_and_b32_e32 v85, 7, v64
	v_cmp_eq_u32_e64 s0, 3, v67
	v_lshrrev_b32_e32 v64, 2, v64
	s_wait_alu 0xfffd
	v_cndmask_b32_e32 v57, v61, v57, vcc_lo
	v_cmp_gt_i32_e32 vcc_lo, 1, v82
	v_and_b32_e32 v61, 7, v70
	v_cmp_lt_i32_e64 s1, 5, v85
	v_cmp_eq_u32_e64 s2, 3, v85
	v_lshrrev_b32_e32 v70, 2, v70
	s_wait_alu 0xfffd
	v_cndmask_b32_e32 v71, v79, v71, vcc_lo
	v_cmp_gt_i32_e32 vcc_lo, 1, v84
	v_and_b32_e32 v79, 7, v87
	v_cmp_lt_i32_e64 s3, 5, v61
	v_cmp_eq_u32_e64 s4, 3, v61
	v_and_b32_e32 v61, 7, v57
	s_wait_alu 0xfffd
	v_cndmask_b32_e32 v63, v63, v66, vcc_lo
	v_cmp_gt_i32_e32 vcc_lo, 1, v86
	v_and_b32_e32 v66, 7, v72
	v_cmp_lt_i32_e64 s5, 5, v79
	v_cmp_eq_u32_e64 s6, 3, v79
	v_cmp_lt_i32_e64 s17, 5, v61
	s_wait_alu 0xfffd
	v_cndmask_b32_e32 v73, v81, v73, vcc_lo
	v_cmp_gt_i32_e32 vcc_lo, 1, v88
	v_and_b32_e32 v81, 7, v90
	v_cmp_eq_u32_e64 s18, 3, v61
	v_lshrrev_b32_e32 v87, 2, v87
	v_cmp_lt_i32_e64 s7, 5, v66
	s_wait_alu 0xfffd
	v_cndmask_b32_e32 v65, v65, v69, vcc_lo
	v_cmp_gt_i32_e32 vcc_lo, 1, v18
	v_cmp_eq_u32_e64 s8, 3, v66
	v_and_b32_e32 v66, 7, v63
	v_and_b32_e32 v69, 7, v74
	v_lshrrev_b32_e32 v72, 2, v72
	s_wait_alu 0xfffd
	v_cndmask_b32_e32 v83, v83, v89, vcc_lo
	v_cmp_lt_i32_e32 vcc_lo, 5, v67
	v_and_b32_e32 v67, 7, v59
	v_cmp_lt_i32_e64 s9, 5, v81
	v_cmp_eq_u32_e64 s10, 3, v81
	v_cmp_lt_i32_e64 s21, 5, v66
	s_or_b32 vcc_lo, s0, vcc_lo
	v_cmp_eq_u32_e64 s22, 3, v66
	s_wait_alu 0xfffe
	v_add_co_ci_u32_e32 v55, vcc_lo, 0, v55, vcc_lo
	s_or_b32 vcc_lo, s2, s1
	v_lshrrev_b32_e32 v90, 2, v90
	s_wait_alu 0xfffe
	v_add_co_ci_u32_e32 v61, vcc_lo, 0, v64, vcc_lo
	s_or_b32 vcc_lo, s4, s3
	v_cmp_lt_i32_e64 s11, 5, v69
	s_wait_alu 0xfffe
	v_add_co_ci_u32_e32 v64, vcc_lo, 0, v70, vcc_lo
	s_or_b32 vcc_lo, s6, s5
	v_cmp_eq_u32_e64 s12, 3, v69
	s_wait_alu 0xfffe
	v_add_co_ci_u32_e32 v66, vcc_lo, 0, v87, vcc_lo
	v_and_b32_e32 v69, 7, v65
	s_or_b32 vcc_lo, s8, s7
	v_cmp_lt_i32_e64 s13, 5, v67
	v_cmp_eq_u32_e64 s14, 3, v67
	s_wait_alu 0xfffe
	v_add_co_ci_u32_e32 v67, vcc_lo, 0, v72, vcc_lo
	v_lshrrev_b32_e32 v74, 2, v74
	s_or_b32 vcc_lo, s10, s9
	v_cmp_lt_i32_e64 s25, 5, v69
	v_cmp_eq_u32_e64 s26, 3, v69
	s_wait_alu 0xfffe
	v_add_co_ci_u32_e32 v69, vcc_lo, 0, v90, vcc_lo
	v_lshrrev_b32_e32 v59, 2, v59
	s_or_b32 vcc_lo, s12, s11
	v_and_b32_e32 v85, 7, v75
	s_wait_alu 0xfffe
	v_add_co_ci_u32_e32 v70, vcc_lo, 0, v74, vcc_lo
	s_or_b32 vcc_lo, s14, s13
	v_lshrrev_b32_e32 v75, 2, v75
	s_wait_alu 0xfffe
	v_add_co_ci_u32_e32 v59, vcc_lo, 0, v59, vcc_lo
	v_cmp_lt_i32_e64 s15, 5, v85
	v_cmp_eq_u32_e64 s16, 3, v85
	v_cmp_gt_i32_e32 vcc_lo, 31, v37
	v_lshrrev_b32_e32 v57, 2, v57
	v_and_b32_e32 v79, 7, v71
	v_lshrrev_b32_e32 v71, 2, v71
	v_lshrrev_b32_e32 v63, 2, v63
	s_wait_alu 0xfffd
	v_cndmask_b32_e32 v55, 0x7c00, v55, vcc_lo
	s_or_b32 vcc_lo, s16, s15
	v_cmp_lt_i32_e64 s19, 5, v79
	s_wait_alu 0xfffe
	v_add_co_ci_u32_e32 v72, vcc_lo, 0, v75, vcc_lo
	v_cmp_gt_i32_e32 vcc_lo, 31, v38
	v_cmp_eq_u32_e64 s20, 3, v79
	v_and_b32_e32 v81, 7, v73
	v_lshrrev_b32_e32 v73, 2, v73
	v_lshrrev_b32_e32 v65, 2, v65
	s_wait_alu 0xfffd
	v_cndmask_b32_e32 v61, 0x7c00, v61, vcc_lo
	s_or_b32 vcc_lo, s18, s17
	v_cmp_lt_i32_e64 s23, 5, v81
	s_wait_alu 0xfffe
	v_add_co_ci_u32_e32 v57, vcc_lo, 0, v57, vcc_lo
	v_cmp_gt_i32_e32 vcc_lo, 31, v39
	v_cmp_eq_u32_e64 s24, 3, v81
	s_wait_alu 0xfffd
	v_dual_cndmask_b32 v64, 0x7c00, v64 :: v_dual_and_b32 v89, 7, v83
	s_or_b32 vcc_lo, s20, s19
	s_delay_alu instid0(VALU_DEP_1)
	v_cmp_eq_u32_e64 s0, 3, v89
	s_wait_alu 0xfffe
	v_add_co_ci_u32_e32 v71, vcc_lo, 0, v71, vcc_lo
	v_cmp_gt_i32_e32 vcc_lo, 31, v40
	s_wait_alu 0xfffd
	v_cndmask_b32_e32 v66, 0x7c00, v66, vcc_lo
	s_or_b32 vcc_lo, s22, s21
	s_wait_alu 0xfffe
	v_add_co_ci_u32_e32 v63, vcc_lo, 0, v63, vcc_lo
	v_cmp_gt_i32_e32 vcc_lo, 31, v41
	s_wait_alu 0xfffd
	v_cndmask_b32_e32 v67, 0x7c00, v67, vcc_lo
	s_or_b32 vcc_lo, s24, s23
	;; [unrolled: 6-line block ×3, first 2 shown]
	s_wait_alu 0xfffe
	v_add_co_ci_u32_e32 v65, vcc_lo, 0, v65, vcc_lo
	v_cmp_gt_i32_e32 vcc_lo, 31, v43
	s_wait_alu 0xfffd
	v_cndmask_b32_e32 v70, 0x7c00, v70, vcc_lo
	v_cmp_gt_i32_e32 vcc_lo, 31, v76
	s_wait_alu 0xfffd
	v_cndmask_b32_e32 v59, 0x7c00, v59, vcc_lo
	v_cmp_eq_u32_e32 vcc_lo, 0x40f, v37
	s_wait_alu 0xfffd
	v_cndmask_b32_e32 v37, v55, v46, vcc_lo
	v_cmp_gt_i32_e32 vcc_lo, 31, v78
	s_delay_alu instid0(VALU_DEP_2)
	v_and_or_b32 v24, 0x8000, v24, v37
	s_wait_alu 0xfffd
	v_cndmask_b32_e32 v46, 0x7c00, v72, vcc_lo
	v_cmp_eq_u32_e32 vcc_lo, 0x40f, v38
	s_wait_alu 0xfffd
	v_cndmask_b32_e32 v38, v61, v47, vcc_lo
	v_cmp_gt_i32_e32 vcc_lo, 31, v80
	s_delay_alu instid0(VALU_DEP_2)
	v_and_or_b32 v25, 0x8000, v25, v38
	;; [unrolled: 8-line block ×6, first 2 shown]
	s_wait_alu 0xfffd
	v_cndmask_b32_e32 v51, 0x7c00, v65, vcc_lo
	v_cmp_eq_u32_e32 vcc_lo, 0x40f, v43
	s_wait_alu 0xfffd
	v_cndmask_b32_e32 v43, v70, v53, vcc_lo
	v_cmp_eq_u32_e32 vcc_lo, 0x40f, v76
	;; [unrolled: 3-line block ×3, first 2 shown]
	s_delay_alu instid0(VALU_DEP_2) | instskip(SKIP_3) | instid1(VALU_DEP_3)
	v_and_or_b32 v22, 0x8000, v22, v53
	s_wait_alu 0xfffd
	v_cndmask_b32_e32 v37, v46, v56, vcc_lo
	v_cmp_eq_u32_e32 vcc_lo, 0x40f, v80
	v_and_b32_e32 v22, 0xffff, v22
	s_delay_alu instid0(VALU_DEP_3)
	v_and_or_b32 v30, 0x8000, v30, v37
	s_wait_alu 0xfffd
	v_cndmask_b32_e32 v38, v47, v58, vcc_lo
	v_cmp_eq_u32_e32 vcc_lo, 0x40f, v82
	v_lshl_or_b32 v22, v24, 16, v22
	v_and_b32_e32 v30, 0xffff, v30
	s_delay_alu instid0(VALU_DEP_4)
	v_and_or_b32 v31, 0x8000, v31, v38
	s_wait_alu 0xfffd
	v_cndmask_b32_e32 v39, v55, v77, vcc_lo
	v_cmp_eq_u32_e32 vcc_lo, 0x40f, v84
	v_lshl_or_b32 v24, v25, 16, v30
	v_and_b32_e32 v31, 0xffff, v31
	s_delay_alu instid0(VALU_DEP_4)
	;; [unrolled: 7-line block ×3, first 2 shown]
	v_and_or_b32 v34, 0x8000, v34, v40
	s_wait_alu 0xfffd
	v_cndmask_b32_e32 v41, v50, v62, vcc_lo
	v_cmp_eq_u32_e32 vcc_lo, 0x40f, v88
	v_lshl_or_b32 v26, v27, 16, v32
	s_clause 0x3
	global_store_b32 v[0:1], v22, off
	global_store_b32 v[4:5], v24, off
	;; [unrolled: 1-line block ×4, first 2 shown]
	v_mul_f16_e32 v1, v49, v2
	v_sub_nc_u32_e32 v0, 0x3f1, v14
	v_lshrrev_b32_e32 v4, 16, v23
	v_or_b32_e32 v5, 0x1000, v33
	s_wait_alu 0xfffd
	v_cndmask_b32_e32 v42, v51, v52, vcc_lo
	v_fmac_f16_e32 v1, v48, v3
	v_med3_i32 v6, v0, 0, 13
	v_cmp_lt_i32_e32 vcc_lo, 5, v89
	v_lshrrev_b32_e32 v0, 2, v83
	v_and_or_b32 v7, 0x8000, v4, v43
	v_cvt_f32_f16_e32 v1, v1
	v_lshrrev_b32_e32 v4, v6, v5
	v_and_or_b32 v8, 0x1ff, v13, v12
	s_or_b32 vcc_lo, s0, vcc_lo
	v_mul_f16_e32 v3, v49, v3
	s_wait_alu 0xfffe
	v_add_co_ci_u32_e32 v9, vcc_lo, 0, v0, vcc_lo
	v_cvt_f64_f32_e32 v[0:1], v1
	v_lshlrev_b32_e32 v6, v6, v4
	v_cmp_ne_u32_e32 vcc_lo, 0, v8
	v_fma_f16 v2, v48, v2, -v3
	v_add_nc_u32_e32 v14, 0xfffffc10, v14
	v_lshrrev_b32_e32 v12, 8, v13
	v_bfe_u32 v22, v13, 20, 11
	s_wait_alu 0xfffd
	v_cndmask_b32_e64 v8, 0, 1, vcc_lo
	v_cmp_ne_u32_e32 vcc_lo, v6, v5
	v_cvt_f32_f16_e32 v6, v2
	v_mul_f64_e32 v[2:3], s[28:29], v[20:21]
	v_and_b32_e32 v34, 0xffff, v34
	v_lshl_or_b32 v21, v14, 12, v33
	s_wait_alu 0xfffd
	v_cndmask_b32_e64 v5, 0, 1, vcc_lo
	v_cmp_ne_u32_e32 vcc_lo, 0, v44
	v_and_or_b32 v8, 0xffe, v12, v8
	v_sub_nc_u32_e32 v12, 0x3f1, v22
	v_lshl_or_b32 v27, v28, 16, v34
	v_or_b32_e32 v20, v4, v5
	s_wait_alu 0xfffd
	v_cndmask_b32_e64 v23, 0, 1, vcc_lo
	v_cmp_gt_i32_e32 vcc_lo, 1, v14
	v_cvt_f64_f32_e32 v[4:5], v6
	v_and_or_b32 v36, 0x8000, v36, v42
	v_or_b32_e32 v6, 0x1000, v8
	v_med3_i32 v12, v12, 0, 13
	s_wait_alu 0xfffd
	v_cndmask_b32_e32 v20, v21, v20, vcc_lo
	v_cmp_gt_i32_e32 vcc_lo, 31, v18
	v_lshl_or_b32 v21, v23, 9, 0x7c00
	global_store_b32 v[16:17], v27, off
	v_and_b32_e32 v24, 0xffff, v36
	s_wait_alu 0xfffd
	v_dual_cndmask_b32 v9, 0x7c00, v9 :: v_dual_and_b32 v16, 7, v20
	v_cmp_eq_u32_e32 vcc_lo, 0x40f, v18
	v_lshrrev_b32_e32 v25, v12, v6
	v_lshl_or_b32 v17, v7, 16, v24
	s_delay_alu instid0(VALU_DEP_4)
	v_cmp_eq_u32_e64 s0, 3, v16
	v_lshrrev_b32_e32 v7, 2, v20
	s_wait_alu 0xfffd
	v_cndmask_b32_e32 v9, v9, v21, vcc_lo
	v_cmp_lt_i32_e32 vcc_lo, 5, v16
	v_lshlrev_b32_e32 v12, v12, v25
	v_mul_f64_e32 v[0:1], s[28:29], v[0:1]
	v_lshrrev_b32_e32 v18, 16, v19
	v_lshrrev_b32_e32 v13, 16, v13
	s_or_b32 vcc_lo, s0, vcc_lo
	v_cmp_ne_u32_e64 s1, v12, v6
	s_wait_alu 0xfffe
	v_add_co_ci_u32_e32 v7, vcc_lo, 0, v7, vcc_lo
	v_cmp_ne_u32_e32 vcc_lo, 0, v33
	v_add_nc_u32_e32 v12, 0xfffffc10, v22
	s_wait_alu 0xf1ff
	v_cndmask_b32_e64 v6, 0, 1, s1
	v_and_or_b32 v2, 0x1ff, v3, v2
	v_bfe_u32 v22, v3, 20, 11
	s_wait_alu 0xfffd
	v_cndmask_b32_e64 v16, 0, 1, vcc_lo
	v_cmp_gt_i32_e32 vcc_lo, 31, v14
	v_or_b32_e32 v19, v25, v6
	v_lshl_or_b32 v20, v12, 12, v8
	v_and_or_b32 v9, 0x8000, v18, v9
	v_lshl_or_b32 v16, v16, 9, 0x7c00
	s_wait_alu 0xfffd
	v_cndmask_b32_e32 v21, 0x7c00, v7, vcc_lo
	v_add_co_u32 v6, vcc_lo, v10, s30
	s_wait_alu 0xfffd
	v_add_co_ci_u32_e32 v7, vcc_lo, s31, v11, vcc_lo
	v_cmp_gt_i32_e32 vcc_lo, 1, v12
	v_mul_f64_e32 v[4:5], s[28:29], v[4:5]
	v_and_or_b32 v35, 0x8000, v35, v41
	v_and_b32_e32 v9, 0xffff, v9
	s_wait_alu 0xfffd
	v_cndmask_b32_e32 v19, v20, v19, vcc_lo
	v_cmp_ne_u32_e32 vcc_lo, 0, v2
	v_lshrrev_b32_e32 v20, 8, v3
	v_lshrrev_b32_e32 v3, 16, v3
	v_and_b32_e32 v35, 0xffff, v35
	s_wait_alu 0xfffd
	v_cndmask_b32_e64 v2, 0, 1, vcc_lo
	v_cmp_eq_u32_e32 vcc_lo, 0x40f, v14
	s_delay_alu instid0(VALU_DEP_3) | instskip(SKIP_1) | instid1(VALU_DEP_4)
	v_lshl_or_b32 v28, v29, 16, v35
	v_and_or_b32 v0, 0x1ff, v1, v0
	v_and_or_b32 v2, 0xffe, v20, v2
	s_wait_alu 0xfffd
	v_cndmask_b32_e32 v14, v21, v16, vcc_lo
	v_and_b32_e32 v16, 7, v19
	v_sub_nc_u32_e32 v20, 0x3f1, v22
	v_bfe_u32 v21, v1, 20, 11
	s_delay_alu instid0(VALU_DEP_4) | instskip(NEXT) | instid1(VALU_DEP_4)
	v_and_or_b32 v14, 0x8000, v15, v14
	v_cmp_lt_i32_e32 vcc_lo, 5, v16
	v_cmp_eq_u32_e64 s0, 3, v16
	v_lshrrev_b32_e32 v16, 2, v19
	v_or_b32_e32 v15, 0x1000, v2
	v_med3_i32 v18, v20, 0, 13
	v_lshrrev_b32_e32 v20, 8, v1
	s_or_b32 vcc_lo, s0, vcc_lo
	v_lshrrev_b32_e32 v1, 16, v1
	s_wait_alu 0xfffe
	v_add_co_ci_u32_e32 v16, vcc_lo, 0, v16, vcc_lo
	v_lshrrev_b32_e32 v19, v18, v15
	v_cmp_ne_u32_e32 vcc_lo, 0, v0
	v_lshl_or_b32 v9, v14, 16, v9
	s_delay_alu instid0(VALU_DEP_3)
	v_lshlrev_b32_e32 v18, v18, v19
	s_wait_alu 0xfffd
	v_cndmask_b32_e64 v0, 0, 1, vcc_lo
	v_cmp_ne_u32_e32 vcc_lo, 0, v8
	v_and_or_b32 v4, 0x1ff, v5, v4
	v_lshrrev_b32_e32 v23, 8, v5
	v_bfe_u32 v24, v5, 20, 11
	v_and_or_b32 v0, 0xffe, v20, v0
	s_wait_alu 0xfffd
	v_cndmask_b32_e64 v8, 0, 1, vcc_lo
	v_cmp_ne_u32_e32 vcc_lo, v18, v15
	v_sub_nc_u32_e32 v20, 0x3f1, v21
	v_add_nc_u32_e32 v18, 0xfffffc10, v22
	v_or_b32_e32 v22, 0x1000, v0
	v_lshl_or_b32 v8, v8, 9, 0x7c00
	s_wait_alu 0xfffd
	v_cndmask_b32_e64 v15, 0, 1, vcc_lo
	v_cmp_gt_i32_e32 vcc_lo, 31, v12
	v_med3_i32 v20, v20, 0, 13
	v_lshrrev_b32_e32 v5, 16, v5
	s_delay_alu instid0(VALU_DEP_4)
	v_or_b32_e32 v15, v19, v15
	s_wait_alu 0xfffd
	v_cndmask_b32_e32 v16, 0x7c00, v16, vcc_lo
	v_cmp_ne_u32_e32 vcc_lo, 0, v4
	v_lshl_or_b32 v19, v18, 12, v2
	v_lshrrev_b32_e32 v25, v20, v22
	s_wait_alu 0xfffd
	v_cndmask_b32_e64 v4, 0, 1, vcc_lo
	v_cmp_gt_i32_e32 vcc_lo, 1, v18
	s_delay_alu instid0(VALU_DEP_2)
	v_and_or_b32 v4, 0xffe, v23, v4
	v_sub_nc_u32_e32 v23, 0x3f1, v24
	s_wait_alu 0xfffd
	v_cndmask_b32_e32 v15, v19, v15, vcc_lo
	v_lshlrev_b32_e32 v19, v20, v25
	v_cmp_eq_u32_e32 vcc_lo, 0x40f, v12
	v_or_b32_e32 v20, 0x1000, v4
	v_med3_i32 v23, v23, 0, 13
	v_and_b32_e32 v26, 7, v15
	v_lshrrev_b32_e32 v15, 2, v15
	s_wait_alu 0xfffd
	v_cndmask_b32_e32 v8, v16, v8, vcc_lo
	v_cmp_ne_u32_e32 vcc_lo, v19, v22
	v_add_nc_u32_e32 v16, 0xfffffc10, v21
	v_lshrrev_b32_e32 v19, v23, v20
	v_cmp_eq_u32_e64 s0, 3, v26
	v_and_or_b32 v8, 0x8000, v13, v8
	s_wait_alu 0xfffd
	v_cndmask_b32_e64 v12, 0, 1, vcc_lo
	v_lshl_or_b32 v21, v16, 12, v0
	v_lshlrev_b32_e32 v22, v23, v19
	v_cmp_gt_i32_e64 s1, 1, v16
	v_cmp_lt_i32_e32 vcc_lo, 5, v26
	v_or_b32_e32 v12, v25, v12
	s_or_b32 vcc_lo, s0, vcc_lo
	s_delay_alu instid0(VALU_DEP_1)
	v_cndmask_b32_e64 v12, v21, v12, s1
	v_cmp_ne_u32_e64 s1, v22, v20
	v_add_nc_u32_e32 v21, 0xfffffc10, v24
	s_wait_alu 0xfffe
	v_add_co_ci_u32_e32 v15, vcc_lo, 0, v15, vcc_lo
	v_and_b32_e32 v22, 7, v12
	s_wait_alu 0xf1ff
	v_cndmask_b32_e64 v20, 0, 1, s1
	v_cmp_ne_u32_e32 vcc_lo, 0, v2
	v_cmp_gt_i32_e64 s0, 1, v21
	v_lshrrev_b32_e32 v12, 2, v12
	v_cmp_gt_i32_e64 s1, 31, v18
	v_or_b32_e32 v19, v19, v20
	v_lshl_or_b32 v20, v21, 12, v4
	s_wait_alu 0xfffd
	v_cndmask_b32_e64 v2, 0, 1, vcc_lo
	v_cmp_lt_i32_e32 vcc_lo, 5, v22
	s_wait_alu 0xf1ff
	v_cndmask_b32_e64 v15, 0x7c00, v15, s1
	v_cmp_eq_u32_e64 s1, 0x40f, v18
	v_cndmask_b32_e64 v13, v20, v19, s0
	v_cmp_eq_u32_e64 s0, 3, v22
	v_lshl_or_b32 v2, v2, 9, 0x7c00
	s_delay_alu instid0(VALU_DEP_3) | instskip(NEXT) | instid1(VALU_DEP_3)
	v_and_b32_e32 v19, 7, v13
	s_or_b32 vcc_lo, s0, vcc_lo
	v_lshrrev_b32_e32 v13, 2, v13
	s_wait_alu 0xfffe
	v_add_co_ci_u32_e32 v12, vcc_lo, 0, v12, vcc_lo
	v_cmp_ne_u32_e32 vcc_lo, 0, v0
	v_cmp_eq_u32_e64 s0, 3, v19
	v_cndmask_b32_e64 v2, v15, v2, s1
	v_cmp_gt_i32_e64 s1, 31, v16
	s_wait_alu 0xfffd
	v_cndmask_b32_e64 v0, 0, 1, vcc_lo
	v_cmp_lt_i32_e32 vcc_lo, 5, v19
	v_and_or_b32 v2, 0x8000, v3, v2
	s_wait_alu 0xf1ff
	v_cndmask_b32_e64 v12, 0x7c00, v12, s1
	v_and_b32_e32 v3, 0xffff, v8
	v_lshl_or_b32 v0, v0, 9, 0x7c00
	s_or_b32 vcc_lo, s0, vcc_lo
	s_wait_alu 0xfffe
	v_add_co_ci_u32_e32 v13, vcc_lo, 0, v13, vcc_lo
	v_cmp_ne_u32_e32 vcc_lo, 0, v4
	s_wait_alu 0xfffd
	v_cndmask_b32_e64 v4, 0, 1, vcc_lo
	v_cmp_eq_u32_e32 vcc_lo, 0x40f, v16
	s_delay_alu instid0(VALU_DEP_2) | instskip(SKIP_3) | instid1(VALU_DEP_2)
	v_lshl_or_b32 v4, v4, 9, 0x7c00
	s_wait_alu 0xfffd
	v_cndmask_b32_e32 v0, v12, v0, vcc_lo
	v_cmp_gt_i32_e32 vcc_lo, 31, v21
	v_and_or_b32 v8, 0x8000, v1, v0
	s_wait_alu 0xfffd
	v_cndmask_b32_e32 v12, 0x7c00, v13, vcc_lo
	v_cmp_eq_u32_e32 vcc_lo, 0x40f, v21
	s_wait_alu 0xfffd
	s_delay_alu instid0(VALU_DEP_2)
	v_cndmask_b32_e32 v4, v12, v4, vcc_lo
	v_add_co_u32 v0, vcc_lo, v6, s30
	s_wait_alu 0xfffd
	v_add_co_ci_u32_e32 v1, vcc_lo, s31, v7, vcc_lo
	v_lshl_or_b32 v12, v2, 16, v3
	v_and_or_b32 v4, 0x8000, v5, v4
	v_and_b32_e32 v5, 0xffff, v8
	v_add_co_u32 v2, vcc_lo, v0, s30
	s_wait_alu 0xfffd
	v_add_co_ci_u32_e32 v3, vcc_lo, s31, v1, vcc_lo
	s_delay_alu instid0(VALU_DEP_3) | instskip(NEXT) | instid1(VALU_DEP_3)
	v_lshl_or_b32 v8, v4, 16, v5
	v_add_co_u32 v4, vcc_lo, v2, s30
	s_wait_alu 0xfffd
	s_delay_alu instid0(VALU_DEP_3)
	v_add_co_ci_u32_e32 v5, vcc_lo, s31, v3, vcc_lo
	global_store_b32 v[10:11], v28, off
	global_store_b32 v[6:7], v17, off
	;; [unrolled: 1-line block ×5, first 2 shown]
.LBB0_2:
	s_nop 0
	s_sendmsg sendmsg(MSG_DEALLOC_VGPRS)
	s_endpgm
	.section	.rodata,"a",@progbits
	.p2align	6, 0x0
	.amdhsa_kernel bluestein_single_back_len2500_dim1_half_op_CI_CI
		.amdhsa_group_segment_fixed_size 10000
		.amdhsa_private_segment_fixed_size 0
		.amdhsa_kernarg_size 104
		.amdhsa_user_sgpr_count 2
		.amdhsa_user_sgpr_dispatch_ptr 0
		.amdhsa_user_sgpr_queue_ptr 0
		.amdhsa_user_sgpr_kernarg_segment_ptr 1
		.amdhsa_user_sgpr_dispatch_id 0
		.amdhsa_user_sgpr_private_segment_size 0
		.amdhsa_wavefront_size32 1
		.amdhsa_uses_dynamic_stack 0
		.amdhsa_enable_private_segment 0
		.amdhsa_system_sgpr_workgroup_id_x 1
		.amdhsa_system_sgpr_workgroup_id_y 0
		.amdhsa_system_sgpr_workgroup_id_z 0
		.amdhsa_system_sgpr_workgroup_info 0
		.amdhsa_system_vgpr_workitem_id 0
		.amdhsa_next_free_vgpr 119
		.amdhsa_next_free_sgpr 32
		.amdhsa_reserve_vcc 1
		.amdhsa_float_round_mode_32 0
		.amdhsa_float_round_mode_16_64 0
		.amdhsa_float_denorm_mode_32 3
		.amdhsa_float_denorm_mode_16_64 3
		.amdhsa_fp16_overflow 0
		.amdhsa_workgroup_processor_mode 1
		.amdhsa_memory_ordered 1
		.amdhsa_forward_progress 0
		.amdhsa_round_robin_scheduling 0
		.amdhsa_exception_fp_ieee_invalid_op 0
		.amdhsa_exception_fp_denorm_src 0
		.amdhsa_exception_fp_ieee_div_zero 0
		.amdhsa_exception_fp_ieee_overflow 0
		.amdhsa_exception_fp_ieee_underflow 0
		.amdhsa_exception_fp_ieee_inexact 0
		.amdhsa_exception_int_div_zero 0
	.end_amdhsa_kernel
	.text
.Lfunc_end0:
	.size	bluestein_single_back_len2500_dim1_half_op_CI_CI, .Lfunc_end0-bluestein_single_back_len2500_dim1_half_op_CI_CI
                                        ; -- End function
	.section	.AMDGPU.csdata,"",@progbits
; Kernel info:
; codeLenInByte = 17780
; NumSgprs: 34
; NumVgprs: 119
; ScratchSize: 0
; MemoryBound: 0
; FloatMode: 240
; IeeeMode: 1
; LDSByteSize: 10000 bytes/workgroup (compile time only)
; SGPRBlocks: 4
; VGPRBlocks: 14
; NumSGPRsForWavesPerEU: 34
; NumVGPRsForWavesPerEU: 119
; Occupancy: 12
; WaveLimiterHint : 1
; COMPUTE_PGM_RSRC2:SCRATCH_EN: 0
; COMPUTE_PGM_RSRC2:USER_SGPR: 2
; COMPUTE_PGM_RSRC2:TRAP_HANDLER: 0
; COMPUTE_PGM_RSRC2:TGID_X_EN: 1
; COMPUTE_PGM_RSRC2:TGID_Y_EN: 0
; COMPUTE_PGM_RSRC2:TGID_Z_EN: 0
; COMPUTE_PGM_RSRC2:TIDIG_COMP_CNT: 0
	.text
	.p2alignl 7, 3214868480
	.fill 96, 4, 3214868480
	.type	__hip_cuid_cda3e8efa89bdd23,@object ; @__hip_cuid_cda3e8efa89bdd23
	.section	.bss,"aw",@nobits
	.globl	__hip_cuid_cda3e8efa89bdd23
__hip_cuid_cda3e8efa89bdd23:
	.byte	0                               ; 0x0
	.size	__hip_cuid_cda3e8efa89bdd23, 1

	.ident	"AMD clang version 19.0.0git (https://github.com/RadeonOpenCompute/llvm-project roc-6.4.0 25133 c7fe45cf4b819c5991fe208aaa96edf142730f1d)"
	.section	".note.GNU-stack","",@progbits
	.addrsig
	.addrsig_sym __hip_cuid_cda3e8efa89bdd23
	.amdgpu_metadata
---
amdhsa.kernels:
  - .args:
      - .actual_access:  read_only
        .address_space:  global
        .offset:         0
        .size:           8
        .value_kind:     global_buffer
      - .actual_access:  read_only
        .address_space:  global
        .offset:         8
        .size:           8
        .value_kind:     global_buffer
      - .actual_access:  read_only
        .address_space:  global
        .offset:         16
        .size:           8
        .value_kind:     global_buffer
      - .actual_access:  read_only
        .address_space:  global
        .offset:         24
        .size:           8
        .value_kind:     global_buffer
      - .actual_access:  read_only
        .address_space:  global
        .offset:         32
        .size:           8
        .value_kind:     global_buffer
      - .offset:         40
        .size:           8
        .value_kind:     by_value
      - .address_space:  global
        .offset:         48
        .size:           8
        .value_kind:     global_buffer
      - .address_space:  global
        .offset:         56
        .size:           8
        .value_kind:     global_buffer
      - .address_space:  global
        .offset:         64
        .size:           8
        .value_kind:     global_buffer
      - .address_space:  global
        .offset:         72
        .size:           8
        .value_kind:     global_buffer
      - .offset:         80
        .size:           4
        .value_kind:     by_value
      - .address_space:  global
        .offset:         88
        .size:           8
        .value_kind:     global_buffer
      - .address_space:  global
        .offset:         96
        .size:           8
        .value_kind:     global_buffer
    .group_segment_fixed_size: 10000
    .kernarg_segment_align: 8
    .kernarg_segment_size: 104
    .language:       OpenCL C
    .language_version:
      - 2
      - 0
    .max_flat_workgroup_size: 250
    .name:           bluestein_single_back_len2500_dim1_half_op_CI_CI
    .private_segment_fixed_size: 0
    .sgpr_count:     34
    .sgpr_spill_count: 0
    .symbol:         bluestein_single_back_len2500_dim1_half_op_CI_CI.kd
    .uniform_work_group_size: 1
    .uses_dynamic_stack: false
    .vgpr_count:     119
    .vgpr_spill_count: 0
    .wavefront_size: 32
    .workgroup_processor_mode: 1
amdhsa.target:   amdgcn-amd-amdhsa--gfx1201
amdhsa.version:
  - 1
  - 2
...

	.end_amdgpu_metadata
